;; amdgpu-corpus repo=ROCm/aiter kind=harvested arch=n/a opt=n/a

/root/src/amdgpu-assembly/repos/ROCm__aiter/hsa/gfx950/fmoe_2stages/fmoe_stage1_bf16_pertokenFp8_blockscale_g1u1_48x128_2tg_pf2.co:	file format elf64-amdgpu

Disassembly of section .text:

0000000000002a00 <_ZN5aiter59fmoe_stage1_bf16_pertokenFp8_blockscale_g1u1_48x128_2tg_pf2E>:
	s_and_b32 s1, s1, 0xffff                                   // 000000002A00: 8601FF01 0000FFFF
	s_load_dwordx2 s[8:9], s[0:1], 0x0                         // 000000002A08: C0060200 00000000
	s_load_dwordx2 s[20:21], s[0:1], 0x10                      // 000000002A10: C0060500 00000010
	s_load_dwordx2 s[24:25], s[0:1], 0x20                      // 000000002A18: C0060600 00000020
	s_load_dwordx2 s[48:49], s[0:1], 0x30                      // 000000002A20: C0060C00 00000030
	s_load_dwordx2 s[28:29], s[0:1], 0x40                      // 000000002A28: C0060700 00000040
	s_load_dwordx2 s[32:33], s[0:1], 0x50                      // 000000002A30: C0060800 00000050
	s_load_dwordx2 s[36:37], s[0:1], 0x60                      // 000000002A38: C0060900 00000060
	s_load_dwordx2 s[12:13], s[0:1], 0x70                      // 000000002A40: C0060300 00000070
	s_load_dwordx2 s[44:45], s[0:1], 0x80                      // 000000002A48: C0060B00 00000080
	s_mov_b32 s89, 0                                           // 000000002A50: BED90080
	s_load_dword s64, s[0:1], 0x90                             // 000000002A54: C0021000 00000090
	s_load_dword s65, s[0:1], 0xa0                             // 000000002A5C: C0021040 000000A0
	s_load_dword s66, s[0:1], 0xb0                             // 000000002A64: C0021080 000000B0
	s_load_dword s67, s[0:1], 0xc0                             // 000000002A6C: C00210C0 000000C0
	s_load_dword s68, s[0:1], 0xd0                             // 000000002A74: C0021100 000000D0
	s_load_dword s69, s[0:1], 0xe0                             // 000000002A7C: C0021140 000000E0
	s_load_dword s71, s[0:1], 0xf0                             // 000000002A84: C00211C0 000000F0
	s_load_dword s72, s[0:1], 0x100                            // 000000002A8C: C0021200 00000100
	s_load_dword s74, s[0:1], 0x110                            // 000000002A94: C0021280 00000110
	s_load_dword s76, s[0:1], 0x120                            // 000000002A9C: C0021300 00000120
	s_load_dword s56, s[0:1], 0x130                            // 000000002AA4: C0020E00 00000130
	s_load_dword s88, s[0:1], 0x140                            // 000000002AAC: C0021600 00000140
	s_load_dword s89, s[0:1], 0x150                            // 000000002AB4: C0021640 00000150
	v_lshrrev_b32_e32 v1, 10, v0                               // 000000002ABC: 2002008A
	v_lshrrev_b32_e32 v2, 10, v1                               // 000000002AC0: 2004028A
	v_and_b32_e32 v2, 0x3ff, v2                                // 000000002AC4: 260404FF 000003FF
	v_and_b32_e32 v1, 0x3ff, v1                                // 000000002ACC: 260202FF 000003FF
	v_and_b32_e32 v0, 0x3ff, v0                                // 000000002AD4: 260000FF 000003FF
	v_lshrrev_b32_e32 v3, 6, v0                                // 000000002ADC: 20060086
	v_and_b32_e32 v0, 63, v0                                   // 000000002AE0: 260000BF
	s_mov_b32 s2, s2                                           // 000000002AE4: BE820002
	s_mov_b32 s3, s3                                           // 000000002AE8: BE830003
	s_mov_b32 s4, s4                                           // 000000002AEC: BE840004
	v_readfirstlane_b32 s7, v3                                 // 000000002AF0: 7E0E0503
	s_waitcnt lgkmcnt(0)                                       // 000000002AF4: BF8CC07F
	s_and_b32 s49, s49, 0xffff                                 // 000000002AF8: 8631FF31 0000FFFF
	s_load_dword s48, s[48:49], 0x0                            // 000000002B00: C0020C18 00000000
	s_and_b32 s45, s45, 0xffff                                 // 000000002B08: 862DFF2D 0000FFFF
	s_and_b32 s9, s9, 0xffff                                   // 000000002B10: 8609FF09 0000FFFF
	s_mul_i32 s60, s66, s68                                    // 000000002B18: 923C4442
	s_mul_i32 s61, s66, 4                                      // 000000002B1C: 923D8442
	s_mov_b32 s22, s60                                         // 000000002B20: BE96003C
	s_mov_b32 s26, -16                                         // 000000002B24: BE9A00D0
	s_mov_b32 s30, s61                                         // 000000002B28: BE9E003D
	s_mov_b32 s14, 0xc0                                        // 000000002B2C: BE8E00FF 000000C0
	s_mov_b32 s38, -16                                         // 000000002B34: BEA600D0
	s_mov_b32 s10, -16                                         // 000000002B38: BE8A00D0
	s_lshr_b32 s60, s64, 7                                     // 000000002B3C: 8F3C8740
	s_mul_i32 s61, s60, 4                                      // 000000002B40: 923D843C
	s_lshr_b32 s60, s65, 7                                     // 000000002B44: 8F3C8741
	s_add_u32 s60, s60, 1                                      // 000000002B48: 803C813C
	s_mul_i32 s60, s60, s61                                    // 000000002B4C: 923C3D3C
	s_mov_b32 s34, s60                                         // 000000002B50: BEA2003C
	s_mov_b32 s23, 0x20000                                     // 000000002B54: BE9700FF 00020000
	s_mov_b32 s27, 0x20000                                     // 000000002B5C: BE9B00FF 00020000
	s_mov_b32 s31, 0x20000                                     // 000000002B64: BE9F00FF 00020000
	s_mov_b32 s35, 0x20000                                     // 000000002B6C: BEA300FF 00020000
	s_mov_b32 s15, 0x20000                                     // 000000002B74: BE8F00FF 00020000
	s_mov_b32 s39, 0x20000                                     // 000000002B7C: BEA700FF 00020000
	s_mov_b32 s11, 0x20000                                     // 000000002B84: BE8B00FF 00020000
	s_and_b32 s21, s21, 0xffff                                 // 000000002B8C: 8615FF15 0000FFFF
	s_and_b32 s25, s25, 0xffff                                 // 000000002B94: 8619FF19 0000FFFF
	s_and_b32 s29, s29, 0xffff                                 // 000000002B9C: 861DFF1D 0000FFFF
	s_and_b32 s33, s33, 0xffff                                 // 000000002BA4: 8621FF21 0000FFFF
	s_and_b32 s13, s13, 0xffff                                 // 000000002BAC: 860DFF0D 0000FFFF
	s_and_b32 s37, s37, 0xffff                                 // 000000002BB4: 8625FF25 0000FFFF
	s_or_b32 s21, s21, 0x40000                                 // 000000002BBC: 8715FF15 00040000
	s_or_b32 s25, s25, 0x40000                                 // 000000002BC4: 8719FF19 00040000
	s_or_b32 s29, s29, 0x40000                                 // 000000002BCC: 871DFF1D 00040000
	s_or_b32 s33, s33, 0x40000                                 // 000000002BD4: 8721FF21 00040000
	s_or_b32 s13, s13, 0x40000                                 // 000000002BDC: 870DFF0D 00040000
	s_or_b32 s37, s37, 0x40000                                 // 000000002BE4: 8725FF25 00040000
	v_accvgpr_write_b32 a79, 0                                 // 000000002BEC: D3D9404F 18000080
	v_mov_b32_e32 v95, 0                                       // 000000002BF4: 7EBE0280
	s_waitcnt lgkmcnt(0)                                       // 000000002BF8: BF8CC07F
	s_mul_i32 s60, s3, 48                                      // 000000002BFC: 923CB003
	s_cmp_lt_i32 s60, s48                                      // 000000002C00: BF04303C
	s_cbranch_scc0 label_158E                                  // 000000002C04: BF841509
	s_mov_b32 s80, 0                                           // 000000002C08: BED00080
	s_lshr_b32 s81, s64, s88                                   // 000000002C0C: 8F515840
	s_mul_i32 s60, s3, 4                                       // 000000002C10: 923C8403
	s_add_u32 s44, s60, s44                                    // 000000002C14: 802C2C3C
	s_addc_u32 s45, 0, s45                                     // 000000002C18: 822D2D80
	s_load_dword s5, s[44:45], 0x0                             // 000000002C1C: C0020156 00000000
	s_mul_i32 s60, s3, 48                                      // 000000002C24: 923CB003
	s_mul_i32 s60, 4, s60                                      // 000000002C28: 923C3C84
	s_add_u32 s12, s60, s12                                    // 000000002C2C: 800C0C3C
	s_addc_u32 s13, 0, s13                                     // 000000002C30: 820D0D80
	v_and_b32_e32 v4, 15, v0                                   // 000000002C34: 2608008F
	v_lshlrev_b32_e32 v4, 2, v4                                // 000000002C38: 24080882
	buffer_load_dword v28, v4, s[12:15], 0 offen               // 000000002C3C: E0501000 80031C04
	v_add_u32_e32 v4, 64, v4                                   // 000000002C44: 680808C0
	buffer_load_dword v29, v4, s[12:15], 0 offen               // 000000002C48: E0501000 80031D04
	v_add_u32_e32 v4, 64, v4                                   // 000000002C50: 680808C0
	buffer_load_dword v30, v4, s[12:15], 0 offen               // 000000002C54: E0501000 80031E04
	v_add_u32_e32 v4, 64, v4                                   // 000000002C5C: 680808C0
	s_mul_i32 s60, 4, s7                                       // 000000002C60: 923C0784
	v_lshlrev_b32_e32 v4, 4, v0                                // 000000002C64: 24080084
	v_add_u32_e32 v4, s60, v4                                  // 000000002C68: 6808083C
	buffer_load_dword v3, v4, s[12:15], 0 offen                // 000000002C6C: E0501000 80030304
	v_mov_b32_e32 v48, 0                                       // 000000002C74: 7E600280
	v_mov_b32_e32 v72, 0                                       // 000000002C78: 7E900280
	v_mov_b32_e32 v49, 0                                       // 000000002C7C: 7E620280
	v_mov_b32_e32 v73, 0                                       // 000000002C80: 7E920280
	v_mov_b32_e32 v50, 0                                       // 000000002C84: 7E640280
	v_mov_b32_e32 v74, 0                                       // 000000002C88: 7E940280
	v_mov_b32_e32 v51, 0                                       // 000000002C8C: 7E660280
	v_mov_b32_e32 v75, 0                                       // 000000002C90: 7E960280
	v_mov_b32_e32 v52, 0                                       // 000000002C94: 7E680280
	v_mov_b32_e32 v76, 0                                       // 000000002C98: 7E980280
	v_mov_b32_e32 v53, 0                                       // 000000002C9C: 7E6A0280
	v_mov_b32_e32 v77, 0                                       // 000000002CA0: 7E9A0280
	v_mov_b32_e32 v54, 0                                       // 000000002CA4: 7E6C0280
	v_mov_b32_e32 v78, 0                                       // 000000002CA8: 7E9C0280
	v_mov_b32_e32 v55, 0                                       // 000000002CAC: 7E6E0280
	v_mov_b32_e32 v79, 0                                       // 000000002CB0: 7E9E0280
	v_mov_b32_e32 v56, 0                                       // 000000002CB4: 7E700280
	v_mov_b32_e32 v80, 0                                       // 000000002CB8: 7EA00280
	v_mov_b32_e32 v57, 0                                       // 000000002CBC: 7E720280
	v_mov_b32_e32 v81, 0                                       // 000000002CC0: 7EA20280
	v_mov_b32_e32 v58, 0                                       // 000000002CC4: 7E740280
	v_mov_b32_e32 v82, 0                                       // 000000002CC8: 7EA40280
	v_mov_b32_e32 v59, 0                                       // 000000002CCC: 7E760280
	v_mov_b32_e32 v83, 0                                       // 000000002CD0: 7EA60280
	v_mov_b32_e32 v60, 0                                       // 000000002CD4: 7E780280
	v_mov_b32_e32 v84, 0                                       // 000000002CD8: 7EA80280
	v_mov_b32_e32 v61, 0                                       // 000000002CDC: 7E7A0280
	v_mov_b32_e32 v85, 0                                       // 000000002CE0: 7EAA0280
	v_mov_b32_e32 v62, 0                                       // 000000002CE4: 7E7C0280
	v_mov_b32_e32 v86, 0                                       // 000000002CE8: 7EAC0280
	v_mov_b32_e32 v63, 0                                       // 000000002CEC: 7E7E0280
	v_mov_b32_e32 v87, 0                                       // 000000002CF0: 7EAE0280
	v_mov_b32_e32 v64, 0                                       // 000000002CF4: 7E800280
	v_mov_b32_e32 v88, 0                                       // 000000002CF8: 7EB00280
	v_mov_b32_e32 v65, 0                                       // 000000002CFC: 7E820280
	v_mov_b32_e32 v89, 0                                       // 000000002D00: 7EB20280
	v_mov_b32_e32 v66, 0                                       // 000000002D04: 7E840280
	v_mov_b32_e32 v90, 0                                       // 000000002D08: 7EB40280
	v_mov_b32_e32 v67, 0                                       // 000000002D0C: 7E860280
	v_mov_b32_e32 v91, 0                                       // 000000002D10: 7EB60280
	v_mov_b32_e32 v68, 0                                       // 000000002D14: 7E880280
	v_mov_b32_e32 v92, 0                                       // 000000002D18: 7EB80280
	v_mov_b32_e32 v69, 0                                       // 000000002D1C: 7E8A0280
	v_mov_b32_e32 v93, 0                                       // 000000002D20: 7EBA0280
	v_mov_b32_e32 v70, 0                                       // 000000002D24: 7E8C0280
	v_mov_b32_e32 v94, 0                                       // 000000002D28: 7EBC0280
	v_mov_b32_e32 v71, 0                                       // 000000002D2C: 7E8E0280
	v_mov_b32_e32 v95, 0                                       // 000000002D30: 7EBE0280
	s_mul_i32 s60, s2, 0x80                                    // 000000002D34: 923CFF02 00000080
	s_cmp_eq_u32 s88, 0                                        // 000000002D3C: BF068058
	s_cselect_b32 s61, 1, 4                                    // 000000002D40: 853D8481
	s_mul_i32 s60, s60, s61                                    // 000000002D44: 923C3D3C
	s_mov_b32 s90, s8                                          // 000000002D48: BEDA0008
	s_mov_b32 s91, s9                                          // 000000002D4C: BEDB0009
	s_add_u32 s8, s60, s8                                      // 000000002D50: 8008083C
	s_addc_u32 s9, 0, s9                                       // 000000002D54: 82090980
	v_lshrrev_b32_e32 v4, 4, v0                                // 000000002D58: 20080084
	v_mul_lo_u32 v20, 34, v4                                   // 000000002D5C: D2850014 000208A2
	v_and_b32_e32 v4, 15, v0                                   // 000000002D64: 2608008F
	v_mul_lo_u32 v5, 2, v4                                     // 000000002D68: D2850005 00020882
	v_add_u32_e32 v20, v5, v20                                 // 000000002D70: 68282905
	s_mul_i32 s60, s7, 0x88                                    // 000000002D74: 923CFF07 00000088
	v_add_u32_e32 v20, s60, v20                                // 000000002D7C: 6828283C
	v_lshlrev_b32_e32 v20, 2, v20                              // 000000002D80: 24282882
	v_and_b32_e32 v4, 31, v0                                   // 000000002D84: 2608009F
	v_lshrrev_b32_e32 v4, 1, v4                                // 000000002D88: 20080881
	v_mul_lo_u32 v21, 34, v4                                   // 000000002D8C: D2850015 000208A2
	v_lshrrev_b32_e32 v4, 5, v0                                // 000000002D94: 20080085
	v_mul_lo_u32 v4, 8, v4                                     // 000000002D98: D2850004 00020888
	v_add_u32_e32 v21, v21, v4                                 // 000000002DA0: 682A0915
	v_and_b32_e32 v5, 1, v0                                    // 000000002DA4: 260A0081
	v_add_u32_e32 v21, v5, v21                                 // 000000002DA8: 682A2B05
	s_mul_i32 s60, s7, 2                                       // 000000002DAC: 923C8207
	v_add_u32_e32 v21, s60, v21                                // 000000002DB0: 682A2A3C
	v_lshlrev_b32_e32 v21, 2, v21                              // 000000002DB4: 242A2A82
	s_mul_i32 s60, s7, 0x620                                   // 000000002DB8: 923CFF07 00000620
	s_add_u32 s48, 0, s60                                      // 000000002DC0: 80303C80
	s_add_u32 s49, 0x1880, s48                                 // 000000002DC4: 803130FF 00001880
	v_lshrrev_b32_e32 v4, 4, v0                                // 000000002DCC: 20080084
	v_lshlrev_b32_e32 v5, 2, v4                                // 000000002DD0: 240A0882
	v_and_b32_e32 v4, 15, v0                                   // 000000002DD4: 2608008F
	v_lshrrev_b32_e32 v6, 2, v4                                // 000000002DD8: 200C0882
	v_lshlrev_b32_e32 v6, 5, v6                                // 000000002DDC: 240C0C85
	v_add_u32_e32 v5, v6, v5                                   // 000000002DE0: 680A0B06
	v_and_b32_e32 v4, 3, v0                                    // 000000002DE4: 26080083
	v_mul_u32_u24_e32 v6, 0x188, v4                            // 000000002DE8: 100C08FF 00000188
	v_add_u32_e32 v5, v6, v5                                   // 000000002DF0: 680A0B06
	v_lshlrev_b32_e32 v2, 2, v5                                // 000000002DF4: 24040A82
	s_waitcnt lgkmcnt(0)                                       // 000000002DF8: BF8CC07F
	s_mul_i32 s60, s2, 0x80                                    // 000000002DFC: 923CFF02 00000080
	s_mul_i32 s60, s60, s69                                    // 000000002E04: 923C453C
	s_mul_i32 s61, s5, s72                                     // 000000002E08: 923D4805
	s_add_u32 s60, s61, s60                                    // 000000002E0C: 803C3C3D
	s_add_u32 s24, s60, s24                                    // 000000002E10: 8018183C
	s_addc_u32 s25, 0, s25                                     // 000000002E14: 82191980
	s_lshr_b32 s60, s64, s88                                   // 000000002E18: 8F3C5840
	s_mul_i32 s60, s4, s60                                     // 000000002E1C: 923C3C04
	s_lshr_b32 s60, s60, 7                                     // 000000002E20: 8F3C873C
	s_mul_i32 s60, s60, 0x800                                  // 000000002E24: 923CFF3C 00000800
	s_add_u32 s24, s60, s24                                    // 000000002E2C: 8018183C
	s_addc_u32 s25, 0, s25                                     // 000000002E30: 82191980
	s_lshr_b32 s60, s69, s88                                   // 000000002E34: 8F3C5845
	s_mul_i32 s60, s4, s60                                     // 000000002E38: 923C3C04
	s_add_u32 s20, s60, s20                                    // 000000002E3C: 8014143C
	s_addc_u32 s21, 0, s21                                     // 000000002E40: 82151580
	s_mul_i32 s60, s7, 16                                      // 000000002E44: 923C9007
	s_mul_i32 s60, s60, s69                                    // 000000002E48: 923C453C
	v_lshlrev_b32_e32 v46, 4, v0                               // 000000002E4C: 245C0084
	v_add_u32_e32 v46, s60, v46                                // 000000002E50: 685C5C3C
	s_mul_i32 s60, 64, s69                                     // 000000002E54: 923C45C0
	v_add_u32_e32 v47, s60, v46                                // 000000002E58: 685E5C3C
	s_mov_b32 s84, s24                                         // 000000002E5C: BED40018
	s_mov_b32 s85, s25                                         // 000000002E60: BED50019
	s_mov_b32 s86, s26                                         // 000000002E64: BED6001A
	s_mov_b32 s87, s27                                         // 000000002E68: BED7001B
	s_mul_i32 s60, s69, s65                                    // 000000002E6C: 923C4145
	s_add_u32 s84, s60, s84                                    // 000000002E70: 8054543C
	s_addc_u32 s85, 0, s85                                     // 000000002E74: 82555580
	s_lshr_b32 s60, s64, 7                                     // 000000002E78: 8F3C8740
	s_mul_i32 s61, s60, 4                                      // 000000002E7C: 923D843C
	v_and_b32_e32 v22, 15, v0                                  // 000000002E80: 262C008F
	v_mul_lo_u32 v22, v22, s61                                 // 000000002E84: D2850016 00007B16
	s_lshr_b32 s60, s65, 7                                     // 000000002E8C: 8F3C8741
	s_mul_i32 s60, s60, s61                                    // 000000002E90: 923C3D3C
	v_add_u32_e64 v23, v22, s60                                // 000000002E94: D1340017 00007916
	s_mul_i32 s60, s2, 1                                       // 000000002E9C: 923C8102
	s_mul_i32 s60, s60, s61                                    // 000000002EA0: 923C3D3C
	s_mul_i32 s61, s5, s74                                     // 000000002EA4: 923D4A05
	s_add_u32 s61, s61, s60                                    // 000000002EA8: 803D3C3D
	s_add_u32 s32, s61, s32                                    // 000000002EAC: 8020203D
	s_addc_u32 s33, 0, s33                                     // 000000002EB0: 82212180
	s_lshr_b32 s60, s64, 7                                     // 000000002EB4: 8F3C8740
	s_lshr_b32 s60, s60, s88                                   // 000000002EB8: 8F3C583C
	s_mul_i32 s60, s4, s60                                     // 000000002EBC: 923C3C04
	s_mul_i32 s61, s60, 4                                      // 000000002EC0: 923D843C
	s_add_u32 s32, s61, s32                                    // 000000002EC4: 8020203D
	s_addc_u32 s33, 0, s33                                     // 000000002EC8: 82212180
	s_lshl_b32 s62, s66, 2                                     // 000000002ECC: 8E3E8242
	s_mul_i32 s62, s60, s62                                    // 000000002ED0: 923E3E3C
	s_add_u32 s28, s62, s28                                    // 000000002ED4: 801C1C3E
	s_addc_u32 s29, 0, s29                                     // 000000002ED8: 821D1D80
	s_mov_b32 s4, 4                                            // 000000002EDC: BE840084
	s_mov_b32 s57, 0x80                                        // 000000002EE0: BEB900FF 00000080
	s_mov_b32 s58, 0x800                                       // 000000002EE8: BEBA00FF 00000800
	s_mov_b32 s83, s58                                         // 000000002EF0: BED3003A
	s_mov_b32 s52, 0x7060302                                   // 000000002EF4: BEB400FF 07060302
	s_mov_b32 s53, 0x400                                       // 000000002EFC: BEB500FF 00000400
	s_mov_b32 s54, 0x40100                                     // 000000002F04: BEB600FF 00040100
	s_mov_b32 s55, 0x4020100                                   // 000000002F0C: BEB700FF 04020100
	s_mov_b32 s6, 0x3fb8aa3b                                   // 000000002F14: BE8600FF 3FB8AA3B
	s_mov_b32 s78, 0xbd92220c                                  // 000000002F1C: BECE00FF BD92220C
	s_mov_b32 s79, 0xbd92220c                                  // 000000002F24: BECF00FF BD92220C
	s_mov_b32 m0, s48                                          // 000000002F2C: BEFC0030
	v_mov_b32_e32 v1, 0xbfcc4231                               // 000000002F30: 7E0202FF BFCC4231
	v_mov_b32_e32 v17, 0xffff0000                              // 000000002F38: 7E2202FF FFFF0000
	v_mov_b32_e32 v18, 0x7fff0000                              // 000000002F40: 7E2402FF 7FFF0000
	v_mov_b32_e32 v19, 0x7fff                                  // 000000002F48: 7E2602FF 00007FFF
	s_waitcnt vmcnt(0) expcnt(0) lgkmcnt(0)                    // 000000002F50: BF8C0000
	v_lshrrev_b32_e32 v4, 5, v0                                // 000000002F54: 20080085
	v_xor_b32_e32 v5, 1, v4                                    // 000000002F58: 2A0A0881
	v_readlane_b32 s82, v3, 0                                  // 000000002F5C: D2890052 00010103
	s_and_b32 s82, s82, 0xffffff                               // 000000002F64: 8652FF52 00FFFFFF
	v_mul_lo_u32 v6, v5, s82                                   // 000000002F6C: D2850006 0000A505
	v_readlane_b32 s82, v3, 1                                  // 000000002F74: D2890052 00010303
	s_and_b32 s82, s82, 0xffffff                               // 000000002F7C: 8652FF52 00FFFFFF
	v_mul_lo_u32 v7, v4, s82                                   // 000000002F84: D2850007 0000A504
	v_add_u32_e32 v40, v6, v7                                  // 000000002F8C: 68500F06
	v_mul_lo_u32 v40, v40, s68                                 // 000000002F90: D2850028 00008928
	v_readlane_b32 s82, v3, 2                                  // 000000002F98: D2890052 00010503
	s_and_b32 s82, s82, 0xffffff                               // 000000002FA0: 8652FF52 00FFFFFF
	v_mul_lo_u32 v6, v5, s82                                   // 000000002FA8: D2850006 0000A505
	v_readlane_b32 s82, v3, 3                                  // 000000002FB0: D2890052 00010703
	s_and_b32 s82, s82, 0xffffff                               // 000000002FB8: 8652FF52 00FFFFFF
	v_mul_lo_u32 v7, v4, s82                                   // 000000002FC0: D2850007 0000A504
	v_add_u32_e32 v41, v6, v7                                  // 000000002FC8: 68520F06
	v_mul_lo_u32 v41, v41, s68                                 // 000000002FCC: D2850029 00008929
	v_readlane_b32 s82, v3, 4                                  // 000000002FD4: D2890052 00010903
	s_and_b32 s82, s82, 0xffffff                               // 000000002FDC: 8652FF52 00FFFFFF
	v_mul_lo_u32 v6, v5, s82                                   // 000000002FE4: D2850006 0000A505
	v_readlane_b32 s82, v3, 5                                  // 000000002FEC: D2890052 00010B03
	s_and_b32 s82, s82, 0xffffff                               // 000000002FF4: 8652FF52 00FFFFFF
	v_mul_lo_u32 v7, v4, s82                                   // 000000002FFC: D2850007 0000A504
	v_add_u32_e32 v42, v6, v7                                  // 000000003004: 68540F06
	v_mul_lo_u32 v42, v42, s68                                 // 000000003008: D285002A 0000892A
	v_readlane_b32 s82, v3, 6                                  // 000000003010: D2890052 00010D03
	s_and_b32 s82, s82, 0xffffff                               // 000000003018: 8652FF52 00FFFFFF
	v_mul_lo_u32 v6, v5, s82                                   // 000000003020: D2850006 0000A505
	v_readlane_b32 s82, v3, 7                                  // 000000003028: D2890052 00010F03
	s_and_b32 s82, s82, 0xffffff                               // 000000003030: 8652FF52 00FFFFFF
	v_mul_lo_u32 v7, v4, s82                                   // 000000003038: D2850007 0000A504
	v_add_u32_e32 v43, v6, v7                                  // 000000003040: 68560F06
	v_mul_lo_u32 v43, v43, s68                                 // 000000003044: D285002B 0000892B
	v_readlane_b32 s82, v3, 8                                  // 00000000304C: D2890052 00011103
	s_and_b32 s82, s82, 0xffffff                               // 000000003054: 8652FF52 00FFFFFF
	v_mul_lo_u32 v6, v5, s82                                   // 00000000305C: D2850006 0000A505
	v_readlane_b32 s82, v3, 9                                  // 000000003064: D2890052 00011303
	s_and_b32 s82, s82, 0xffffff                               // 00000000306C: 8652FF52 00FFFFFF
	v_mul_lo_u32 v7, v4, s82                                   // 000000003074: D2850007 0000A504
	v_add_u32_e32 v44, v6, v7                                  // 00000000307C: 68580F06
	v_mul_lo_u32 v44, v44, s68                                 // 000000003080: D285002C 0000892C
	v_readlane_b32 s82, v3, 10                                 // 000000003088: D2890052 00011503
	s_and_b32 s82, s82, 0xffffff                               // 000000003090: 8652FF52 00FFFFFF
	v_mul_lo_u32 v6, v5, s82                                   // 000000003098: D2850006 0000A505
	v_readlane_b32 s82, v3, 11                                 // 0000000030A0: D2890052 00011703
	s_and_b32 s82, s82, 0xffffff                               // 0000000030A8: 8652FF52 00FFFFFF
	v_mul_lo_u32 v7, v4, s82                                   // 0000000030B0: D2850007 0000A504
	v_add_u32_e32 v45, v6, v7                                  // 0000000030B8: 685A0F06
	v_mul_lo_u32 v45, v45, s68                                 // 0000000030BC: D285002D 0000892D
	v_and_b32_e32 v4, 31, v0                                   // 0000000030C4: 2608009F
	v_lshlrev_b32_e32 v4, 2, v4                                // 0000000030C8: 24080882
	v_add_u32_e32 v40, v40, v4                                 // 0000000030CC: 68500928
	v_add_u32_e32 v41, v41, v4                                 // 0000000030D0: 68520929
	v_add_u32_e32 v42, v42, v4                                 // 0000000030D4: 6854092A
	v_add_u32_e32 v43, v43, v4                                 // 0000000030D8: 6856092B
	v_add_u32_e32 v44, v44, v4                                 // 0000000030DC: 6858092C
	v_add_u32_e32 v45, v45, v4                                 // 0000000030E0: 685A092D
	v_and_b32_e32 v28, 0xffffff, v28                           // 0000000030E4: 263838FF 00FFFFFF
	v_lshlrev_b32_e32 v28, 2, v28                              // 0000000030EC: 24383882
	v_and_b32_e32 v29, 0xffffff, v29                           // 0000000030F0: 263A3AFF 00FFFFFF
	v_lshlrev_b32_e32 v29, 2, v29                              // 0000000030F8: 243A3A82
	v_and_b32_e32 v30, 0xffffff, v30                           // 0000000030FC: 263C3CFF 00FFFFFF
	v_lshlrev_b32_e32 v30, 2, v30                              // 000000003104: 243C3C82
	s_lshl_b32 s3, s66, 2                                      // 000000003108: 8E038242
	buffer_load_dword v40, s[20:23], 0 offen lds               // 00000000310C: E0511000 80050028
	s_add_u32 m0, 0x100, s48                                   // 000000003114: 807C30FF 00000100
	buffer_load_dword v41, s[20:23], 0 offen lds               // 00000000311C: E0511000 80050029
	s_add_u32 m0, 0x200, s48                                   // 000000003124: 807C30FF 00000200
	buffer_load_dword v42, s[20:23], 0 offen lds               // 00000000312C: E0511000 8005002A
	s_add_u32 m0, 0x300, s48                                   // 000000003134: 807C30FF 00000300
	buffer_load_dword v43, s[20:23], 0 offen lds               // 00000000313C: E0511000 8005002B
	s_add_u32 m0, 0x400, s48                                   // 000000003144: 807C30FF 00000400
	buffer_load_dword v44, s[20:23], 0 offen lds               // 00000000314C: E0511000 8005002C
	s_add_u32 m0, 0x500, s48                                   // 000000003154: 807C30FF 00000500
	buffer_load_dword v45, s[20:23], 0 offen lds               // 00000000315C: E0511000 8005002D
	s_add_u32 m0, 0, s49                                       // 000000003164: 807C3180
	s_add_u32 s20, s57, s20                                    // 000000003168: 80141439
	s_addc_u32 s21, 0, s21                                     // 00000000316C: 82151580
	buffer_load_dword v31, v28, s[28:31], 0 offen              // 000000003170: E0501000 80071F1C
	buffer_load_dword v32, v29, s[28:31], 0 offen              // 000000003178: E0501000 8007201D
	buffer_load_dword v33, v30, s[28:31], 0 offen              // 000000003180: E0501000 8007211E
	s_add_u32 s28, s3, s28                                     // 000000003188: 801C1C03
	s_addc_u32 s29, 0, s29                                     // 00000000318C: 821D1D80
	buffer_load_dword v40, s[20:23], 0 offen lds               // 000000003190: E0511000 80050028
	s_add_u32 m0, 0x100, s49                                   // 000000003198: 807C31FF 00000100
	buffer_load_dword v41, s[20:23], 0 offen lds               // 0000000031A0: E0511000 80050029
	s_add_u32 m0, 0x200, s49                                   // 0000000031A8: 807C31FF 00000200
	buffer_load_dword v42, s[20:23], 0 offen lds               // 0000000031B0: E0511000 8005002A
	s_add_u32 m0, 0x300, s49                                   // 0000000031B8: 807C31FF 00000300
	buffer_load_dword v43, s[20:23], 0 offen lds               // 0000000031C0: E0511000 8005002B
	s_add_u32 m0, 0x400, s49                                   // 0000000031C8: 807C31FF 00000400
	buffer_load_dword v44, s[20:23], 0 offen lds               // 0000000031D0: E0511000 8005002C
	s_add_u32 m0, 0x500, s49                                   // 0000000031D8: 807C31FF 00000500
	buffer_load_dword v45, s[20:23], 0 offen lds               // 0000000031E0: E0511000 8005002D
	s_add_u32 m0, 0, s48                                       // 0000000031E8: 807C3080
	s_add_u32 s20, s57, s20                                    // 0000000031EC: 80141439
	s_addc_u32 s21, 0, s21                                     // 0000000031F0: 82151580
	buffer_load_dword v34, v28, s[28:31], 0 offen              // 0000000031F4: E0501000 8007221C
	buffer_load_dword v35, v29, s[28:31], 0 offen              // 0000000031FC: E0501000 8007231D
	buffer_load_dword v36, v30, s[28:31], 0 offen              // 000000003204: E0501000 8007241E
	s_add_u32 s28, s3, s28                                     // 00000000320C: 801C1C03
	s_addc_u32 s29, 0, s29                                     // 000000003210: 821D1D80
	buffer_load_dword v24, v22, s[32:35], 0 offen              // 000000003214: E0501000 80081816
	buffer_load_dwordx4 a[48:51], v46, s[24:27], 0 offen       // 00000000321C: E05C1000 8086302E
	buffer_load_dwordx4 a[52:55], v46, s[24:27], 0 offen offset:1024// 000000003224: E05C1400 8086342E
	buffer_load_dwordx4 a[56:59], v47, s[24:27], 0 offen       // 00000000322C: E05C1000 8086382F
	buffer_load_dwordx4 a[60:63], v47, s[24:27], 0 offen offset:1024// 000000003234: E05C1400 80863C2F
	s_add_u32 s24, s58, s24                                    // 00000000323C: 8018183A
	s_addc_u32 s25, 0, s25                                     // 000000003240: 82191980
	s_waitcnt vmcnt(17)                                        // 000000003244: BF8C4F71
	s_barrier                                                  // 000000003248: BF8A0000
	ds_read_b128 a[0:3], v2                                    // 00000000324C: DBFE0000 00000002
	ds_read_b128 a[4:7], v2 offset:64                          // 000000003254: DBFE0040 04000002
	ds_read_b128 a[8:11], v2 offset:512                        // 00000000325C: DBFE0200 08000002
	ds_read_b128 a[12:15], v2 offset:576                       // 000000003264: DBFE0240 0C000002
	ds_read_b128 a[16:19], v2 offset:1024                      // 00000000326C: DBFE0400 10000002
	ds_read_b128 a[20:23], v2 offset:1088                      // 000000003274: DBFE0440 14000002
	s_cmp_lt_i32 s7, 2                                         // 00000000327C: BF048207
	s_cbranch_scc0 label_0BD9                                  // 000000003280: BF8409B5

0000000000003284 <label_0221>:
	s_waitcnt vmcnt(2) lgkmcnt(0)                              // 000000003284: BF8C0072
	s_barrier                                                  // 000000003288: BF8A0000
	v_mov_b32_e32 v37, v31                                     // 00000000328C: 7E4A031F
	v_mov_b32_e32 v38, v32                                     // 000000003290: 7E4C0320
	v_mov_b32_e32 v39, v33                                     // 000000003294: 7E4E0321
	v_mul_f32_dpp v4, v24, v37 row_newbcast:0 row_mask:0xf bank_mask:0xf// 000000003298: 0A084AFA FF015018
	v_mfma_f32_16x16x32_fp8_fp8 v[8:11], a[48:49], a[0:1], 0   // 0000000032A0: D3F30008 1A020130
	buffer_load_dword v27, v23, s[32:35], 0 offen              // 0000000032A8: E0501000 80081B17
	v_mfma_f32_16x16x32_fp8_fp8 v[8:11], a[50:51], a[2:3], v[8:11]// 0000000032B0: D3F30008 1C220532
	buffer_load_dwordx4 a[64:67], v46, s[84:87], 0 offen       // 0000000032B8: E05C1000 8095402E
	v_mfma_f32_16x16x32_fp8_fp8 v[8:11], a[52:53], a[4:5], v[8:11]// 0000000032C0: D3F30008 1C220934
	v_mfma_f32_16x16x32_fp8_fp8 v[8:11], a[54:55], a[6:7], v[8:11]// 0000000032C8: D3F30008 1C220D36
	v_mul_f32_dpp v6, v24, v38 row_newbcast:0 row_mask:0xf bank_mask:0xf// 0000000032D0: 0A0C4CFA FF015018
	v_mfma_f32_16x16x32_fp8_fp8 v[12:15], a[48:49], a[8:9], 0  // 0000000032D8: D3F3000C 1A021130
	v_mfma_f32_16x16x32_fp8_fp8 v[12:15], a[50:51], a[10:11], v[12:15]// 0000000032E0: D3F3000C 1C321532
	buffer_load_dwordx4 a[68:71], v46, s[84:87], 0 offen offset:1024// 0000000032E8: E05C1400 8095442E
	v_mfma_f32_16x16x32_fp8_fp8 v[12:15], a[52:53], a[12:13], v[12:15]// 0000000032F0: D3F3000C 1C321934
	v_mfma_f32_16x16x32_fp8_fp8 v[12:15], a[54:55], a[14:15], v[12:15]// 0000000032F8: D3F3000C 1C321D36
	v_fma_f32 v48, v8, v4, v48                                 // 000000003300: D1CB0030 04C20908
	v_fma_f32 v49, v9, v4, v49                                 // 000000003308: D1CB0031 04C60909
	v_fma_f32 v50, v10, v4, v50                                // 000000003310: D1CB0032 04CA090A
	v_fma_f32 v51, v11, v4, v51                                // 000000003318: D1CB0033 04CE090B
	v_mul_f32_dpp v4, v24, v39 row_newbcast:0 row_mask:0xf bank_mask:0xf// 000000003320: 0A084EFA FF015018
	v_mfma_f32_16x16x32_fp8_fp8 v[8:11], a[48:49], a[16:17], 0 // 000000003328: D3F30008 1A022130
	v_mfma_f32_16x16x32_fp8_fp8 v[8:11], a[50:51], a[18:19], v[8:11]// 000000003330: D3F30008 1C222532
	buffer_load_dwordx4 a[72:75], v47, s[84:87], 0 offen       // 000000003338: E05C1000 8095482F
	v_mfma_f32_16x16x32_fp8_fp8 v[8:11], a[52:53], a[20:21], v[8:11]// 000000003340: D3F30008 1C222934
	v_mfma_f32_16x16x32_fp8_fp8 v[8:11], a[54:55], a[22:23], v[8:11]// 000000003348: D3F30008 1C222D36
	v_fma_f32 v52, v12, v6, v52                                // 000000003350: D1CB0034 04D20D0C
	v_fma_f32 v53, v13, v6, v53                                // 000000003358: D1CB0035 04D60D0D
	v_fma_f32 v54, v14, v6, v54                                // 000000003360: D1CB0036 04DA0D0E
	v_fma_f32 v55, v15, v6, v55                                // 000000003368: D1CB0037 04DE0D0F
	s_waitcnt vmcnt(4)                                         // 000000003370: BF8C0F74
	v_mul_f32_dpp v6, v24, v37 row_newbcast:0 row_mask:0xf bank_mask:0xf// 000000003374: 0A0C4AFA FF015018
	v_mfma_f32_16x16x32_fp8_fp8 v[12:15], a[56:57], a[0:1], 0  // 00000000337C: D3F3000C 1A020138
	v_mfma_f32_16x16x32_fp8_fp8 v[12:15], a[58:59], a[2:3], v[12:15]// 000000003384: D3F3000C 1C32053A
	buffer_load_dwordx4 a[76:79], v47, s[84:87], 0 offen offset:1024// 00000000338C: E05C1400 80954C2F
	buffer_load_dword v40, s[20:23], 0 offen lds               // 000000003394: E0511000 80050028
	s_add_u32 m0, 0x100, s48                                   // 00000000339C: 807C30FF 00000100
	v_mfma_f32_16x16x32_fp8_fp8 v[12:15], a[60:61], a[4:5], v[12:15]// 0000000033A4: D3F3000C 1C32093C
	v_mfma_f32_16x16x32_fp8_fp8 v[12:15], a[62:63], a[6:7], v[12:15]// 0000000033AC: D3F3000C 1C320D3E
	buffer_load_dword v41, s[20:23], 0 offen lds               // 0000000033B4: E0511000 80050029
	s_add_u32 m0, 0x200, s48                                   // 0000000033BC: 807C30FF 00000200
	v_fma_f32 v56, v8, v4, v56                                 // 0000000033C4: D1CB0038 04E20908
	v_fma_f32 v57, v9, v4, v57                                 // 0000000033CC: D1CB0039 04E60909
	v_fma_f32 v58, v10, v4, v58                                // 0000000033D4: D1CB003A 04EA090A
	v_fma_f32 v59, v11, v4, v59                                // 0000000033DC: D1CB003B 04EE090B
	v_mul_f32_dpp v4, v24, v38 row_newbcast:0 row_mask:0xf bank_mask:0xf// 0000000033E4: 0A084CFA FF015018
	v_mfma_f32_16x16x32_fp8_fp8 v[8:11], a[56:57], a[8:9], 0   // 0000000033EC: D3F30008 1A021138
	v_mfma_f32_16x16x32_fp8_fp8 v[8:11], a[58:59], a[10:11], v[8:11]// 0000000033F4: D3F30008 1C22153A
	buffer_load_dword v42, s[20:23], 0 offen lds               // 0000000033FC: E0511000 8005002A
	s_add_u32 m0, 0x300, s48                                   // 000000003404: 807C30FF 00000300
	v_mfma_f32_16x16x32_fp8_fp8 v[8:11], a[60:61], a[12:13], v[8:11]// 00000000340C: D3F30008 1C22193C
	v_mfma_f32_16x16x32_fp8_fp8 v[8:11], a[62:63], a[14:15], v[8:11]// 000000003414: D3F30008 1C221D3E
	buffer_load_dword v43, s[20:23], 0 offen lds               // 00000000341C: E0511000 8005002B
	s_add_u32 m0, 0x400, s48                                   // 000000003424: 807C30FF 00000400
	v_fma_f32 v60, v12, v6, v60                                // 00000000342C: D1CB003C 04F20D0C
	v_fma_f32 v61, v13, v6, v61                                // 000000003434: D1CB003D 04F60D0D
	v_fma_f32 v62, v14, v6, v62                                // 00000000343C: D1CB003E 04FA0D0E
	v_fma_f32 v63, v15, v6, v63                                // 000000003444: D1CB003F 04FE0D0F
	v_mul_f32_dpp v6, v24, v39 row_newbcast:0 row_mask:0xf bank_mask:0xf// 00000000344C: 0A0C4EFA FF015018
	v_mfma_f32_16x16x32_fp8_fp8 v[12:15], a[56:57], a[16:17], 0// 000000003454: D3F3000C 1A022138
	v_mfma_f32_16x16x32_fp8_fp8 v[12:15], a[58:59], a[18:19], v[12:15]// 00000000345C: D3F3000C 1C32253A
	buffer_load_dword v44, s[20:23], 0 offen lds               // 000000003464: E0511000 8005002C
	s_add_u32 m0, 0x500, s48                                   // 00000000346C: 807C30FF 00000500
	s_add_u32 s60, 0x80, s80                                   // 000000003474: 803C50FF 00000080
	s_cmp_lt_u32 s60, s81                                      // 00000000347C: BF0A513C
	s_cselect_b32 s83, s83, 0                                  // 000000003480: 85538053
	s_cselect_b32 s4, s4, 0                                    // 000000003484: 85048004
	v_mfma_f32_16x16x32_fp8_fp8 v[12:15], a[60:61], a[20:21], v[12:15]// 000000003488: D3F3000C 1C32293C
	s_add_u32 s32, s4, s32                                     // 000000003490: 80202004
	s_addc_u32 s33, 0, s33                                     // 000000003494: 82212180
	v_mfma_f32_16x16x32_fp8_fp8 v[12:15], a[62:63], a[22:23], v[12:15]// 000000003498: D3F3000C 1C322D3E
	buffer_load_dword v45, s[20:23], 0 offen lds               // 0000000034A0: E0511000 8005002D
	s_add_u32 m0, 0, s49                                       // 0000000034A8: 807C3180
	v_fma_f32 v64, v8, v4, v64                                 // 0000000034AC: D1CB0040 05020908
	v_fma_f32 v65, v9, v4, v65                                 // 0000000034B4: D1CB0041 05060909
	v_fma_f32 v66, v10, v4, v66                                // 0000000034BC: D1CB0042 050A090A
	v_fma_f32 v67, v11, v4, v67                                // 0000000034C4: D1CB0043 050E090B
	v_fma_f32 v68, v12, v6, v68                                // 0000000034CC: D1CB0044 05120D0C
	v_fma_f32 v69, v13, v6, v69                                // 0000000034D4: D1CB0045 05160D0D
	v_fma_f32 v70, v14, v6, v70                                // 0000000034DC: D1CB0046 051A0D0E
	v_fma_f32 v71, v15, v6, v71                                // 0000000034E4: D1CB0047 051E0D0F
	buffer_load_dword v31, v28, s[28:31], 0 offen              // 0000000034EC: E0501000 80071F1C
	buffer_load_dword v32, v29, s[28:31], 0 offen              // 0000000034F4: E0501000 8007201D
	buffer_load_dword v33, v30, s[28:31], 0 offen              // 0000000034FC: E0501000 8007211E
	s_waitcnt vmcnt(9)                                         // 000000003504: BF8C0F79
	v_mul_f32_dpp v4, v27, v37 row_newbcast:0 row_mask:0xf bank_mask:0xf// 000000003508: 0A084AFA FF01501B
	v_mfma_f32_16x16x32_fp8_fp8 v[8:11], a[64:65], a[0:1], 0   // 000000003510: D3F30008 1A020140
	buffer_load_dword v24, v22, s[32:35], 0 offen              // 000000003518: E0501000 80081816
	v_mfma_f32_16x16x32_fp8_fp8 v[8:11], a[66:67], a[2:3], v[8:11]// 000000003520: D3F30008 1C220542
	buffer_load_dwordx4 a[48:51], v46, s[24:27], 0 offen       // 000000003528: E05C1000 8086302E
	v_mfma_f32_16x16x32_fp8_fp8 v[8:11], a[68:69], a[4:5], v[8:11]// 000000003530: D3F30008 1C220944
	v_mfma_f32_16x16x32_fp8_fp8 v[8:11], a[70:71], a[6:7], v[8:11]// 000000003538: D3F30008 1C220D46
	ds_read_b128 a[24:27], v2 offset:6272                      // 000000003540: DBFE1880 18000002
	ds_read_b128 a[28:31], v2 offset:6336                      // 000000003548: DBFE18C0 1C000002
	v_mfma_f32_16x16x32_fp8_fp8 v[12:15], a[72:73], a[0:1], 0  // 000000003550: D3F3000C 1A020148
	v_mfma_f32_16x16x32_fp8_fp8 v[12:15], a[74:75], a[2:3], v[12:15]// 000000003558: D3F3000C 1C32054A
	buffer_load_dwordx4 a[52:55], v46, s[24:27], 0 offen offset:1024// 000000003560: E05C1400 8086342E
	v_mfma_f32_16x16x32_fp8_fp8 v[12:15], a[76:77], a[4:5], v[12:15]// 000000003568: D3F3000C 1C32094C
	v_mfma_f32_16x16x32_fp8_fp8 v[12:15], a[78:79], a[6:7], v[12:15]// 000000003570: D3F3000C 1C320D4E
	ds_read_b128 a[32:35], v2 offset:6784                      // 000000003578: DBFE1A80 20000002
	ds_read_b128 a[36:39], v2 offset:6848                      // 000000003580: DBFE1AC0 24000002
	v_fma_f32 v72, v8, v4, v72                                 // 000000003588: D1CB0048 05220908
	v_fma_f32 v73, v9, v4, v73                                 // 000000003590: D1CB0049 05260909
	v_fma_f32 v74, v10, v4, v74                                // 000000003598: D1CB004A 052A090A
	v_fma_f32 v75, v11, v4, v75                                // 0000000035A0: D1CB004B 052E090B
	v_mul_f32_dpp v6, v27, v38 row_newbcast:0 row_mask:0xf bank_mask:0xf// 0000000035A8: 0A0C4CFA FF01501B
	v_mfma_f32_16x16x32_fp8_fp8 v[8:11], a[64:65], a[8:9], 0   // 0000000035B0: D3F30008 1A021140
	v_mfma_f32_16x16x32_fp8_fp8 v[8:11], a[66:67], a[10:11], v[8:11]// 0000000035B8: D3F30008 1C221542
	buffer_load_dwordx4 a[56:59], v47, s[24:27], 0 offen       // 0000000035C0: E05C1000 8086382F
	v_mfma_f32_16x16x32_fp8_fp8 v[8:11], a[68:69], a[12:13], v[8:11]// 0000000035C8: D3F30008 1C221944
	v_mfma_f32_16x16x32_fp8_fp8 v[8:11], a[70:71], a[14:15], v[8:11]// 0000000035D0: D3F30008 1C221D46
	ds_read_b128 a[40:43], v2 offset:7296                      // 0000000035D8: DBFE1C80 28000002
	ds_read_b128 a[44:47], v2 offset:7360                      // 0000000035E0: DBFE1CC0 2C000002
	v_fma_f32 v84, v12, v4, v84                                // 0000000035E8: D1CB0054 0552090C
	v_fma_f32 v85, v13, v4, v85                                // 0000000035F0: D1CB0055 0556090D
	v_fma_f32 v86, v14, v4, v86                                // 0000000035F8: D1CB0056 055A090E
	v_fma_f32 v87, v15, v4, v87                                // 000000003600: D1CB0057 055E090F
	v_mfma_f32_16x16x32_fp8_fp8 v[12:15], a[72:73], a[8:9], 0  // 000000003608: D3F3000C 1A021148
	v_mfma_f32_16x16x32_fp8_fp8 v[12:15], a[74:75], a[10:11], v[12:15]// 000000003610: D3F3000C 1C32154A
	buffer_load_dwordx4 a[60:63], v47, s[24:27], 0 offen offset:1024// 000000003618: E05C1400 80863C2F
	v_mfma_f32_16x16x32_fp8_fp8 v[12:15], a[76:77], a[12:13], v[12:15]// 000000003620: D3F3000C 1C32194C
	v_mfma_f32_16x16x32_fp8_fp8 v[12:15], a[78:79], a[14:15], v[12:15]// 000000003628: D3F3000C 1C321D4E
	v_fma_f32 v76, v8, v6, v76                                 // 000000003630: D1CB004C 05320D08
	v_fma_f32 v77, v9, v6, v77                                 // 000000003638: D1CB004D 05360D09
	v_fma_f32 v78, v10, v6, v78                                // 000000003640: D1CB004E 053A0D0A
	v_fma_f32 v79, v11, v6, v79                                // 000000003648: D1CB004F 053E0D0B
	v_mul_f32_dpp v4, v27, v39 row_newbcast:0 row_mask:0xf bank_mask:0xf// 000000003650: 0A084EFA FF01501B
	v_mfma_f32_16x16x32_fp8_fp8 v[8:11], a[64:65], a[16:17], 0 // 000000003658: D3F30008 1A022140
	v_mfma_f32_16x16x32_fp8_fp8 v[8:11], a[66:67], a[18:19], v[8:11]// 000000003660: D3F30008 1C222542
	v_mfma_f32_16x16x32_fp8_fp8 v[8:11], a[68:69], a[20:21], v[8:11]// 000000003668: D3F30008 1C222944
	s_add_u32 s60, 0x180, s80                                  // 000000003670: 803C50FF 00000180
	s_cmp_lt_u32 s60, s81                                      // 000000003678: BF0A513C
	s_cselect_b32 s57, s57, 0                                  // 00000000367C: 85398039
	s_cselect_b32 s3, s3, 0                                    // 000000003680: 85038003
	v_mfma_f32_16x16x32_fp8_fp8 v[8:11], a[70:71], a[22:23], v[8:11]// 000000003684: D3F30008 1C222D46
	s_add_u32 s60, 0x100, s80                                  // 00000000368C: 803C50FF 00000100
	s_cmp_lt_u32 s60, s81                                      // 000000003694: BF0A513C
	s_cselect_b32 s58, s58, 0                                  // 000000003698: 853A803A
	v_fma_f32 v88, v12, v6, v88                                // 00000000369C: D1CB0058 05620D0C
	v_fma_f32 v89, v13, v6, v89                                // 0000000036A4: D1CB0059 05660D0D
	v_fma_f32 v90, v14, v6, v90                                // 0000000036AC: D1CB005A 056A0D0E
	v_fma_f32 v91, v15, v6, v91                                // 0000000036B4: D1CB005B 056E0D0F
	v_mfma_f32_16x16x32_fp8_fp8 v[12:15], a[72:73], a[16:17], 0// 0000000036BC: D3F3000C 1A022148
	s_add_u32 s24, s58, s24                                    // 0000000036C4: 8018183A
	s_addc_u32 s25, 0, s25                                     // 0000000036C8: 82191980
	v_mfma_f32_16x16x32_fp8_fp8 v[12:15], a[74:75], a[18:19], v[12:15]// 0000000036CC: D3F3000C 1C32254A
	s_add_u32 s20, s57, s20                                    // 0000000036D4: 80141439
	s_addc_u32 s21, 0, s21                                     // 0000000036D8: 82151580
	s_add_u32 s28, s3, s28                                     // 0000000036DC: 801C1C03
	s_addc_u32 s29, 0, s29                                     // 0000000036E0: 821D1D80
	v_mfma_f32_16x16x32_fp8_fp8 v[12:15], a[76:77], a[20:21], v[12:15]// 0000000036E4: D3F3000C 1C32294C
	s_add_u32 s84, s83, s84                                    // 0000000036EC: 80545453
	s_addc_u32 s85, 0, s85                                     // 0000000036F0: 82555580
	v_mfma_f32_16x16x32_fp8_fp8 v[12:15], a[78:79], a[22:23], v[12:15]// 0000000036F4: D3F3000C 1C322D4E
	v_fma_f32 v80, v8, v4, v80                                 // 0000000036FC: D1CB0050 05420908
	v_fma_f32 v81, v9, v4, v81                                 // 000000003704: D1CB0051 05460909
	v_fma_f32 v82, v10, v4, v82                                // 00000000370C: D1CB0052 054A090A
	v_fma_f32 v83, v11, v4, v83                                // 000000003714: D1CB0053 054E090B
	v_fma_f32 v92, v12, v4, v92                                // 00000000371C: D1CB005C 0572090C
	v_fma_f32 v93, v13, v4, v93                                // 000000003724: D1CB005D 0576090D
	v_fma_f32 v94, v14, v4, v94                                // 00000000372C: D1CB005E 057A090E
	v_fma_f32 v95, v15, v4, v95                                // 000000003734: D1CB005F 057E090F
	s_addk_i32 s80, 0x80                                       // 00000000373C: B7500080
	s_cmp_lt_i32 s80, s81                                      // 000000003740: BF045150
	s_cbranch_scc0 label_0484                                  // 000000003744: BF840132
	s_waitcnt vmcnt(2) lgkmcnt(0)                              // 000000003748: BF8C0072
	s_barrier                                                  // 00000000374C: BF8A0000
	v_mov_b32_e32 v37, v34                                     // 000000003750: 7E4A0322
	v_mov_b32_e32 v38, v35                                     // 000000003754: 7E4C0323
	v_mov_b32_e32 v39, v36                                     // 000000003758: 7E4E0324
	v_mul_f32_dpp v4, v24, v37 row_newbcast:0 row_mask:0xf bank_mask:0xf// 00000000375C: 0A084AFA FF015018
	v_mfma_f32_16x16x32_fp8_fp8 v[8:11], a[48:49], a[24:25], 0 // 000000003764: D3F30008 1A023130
	buffer_load_dword v27, v23, s[32:35], 0 offen              // 00000000376C: E0501000 80081B17
	v_mfma_f32_16x16x32_fp8_fp8 v[8:11], a[50:51], a[26:27], v[8:11]// 000000003774: D3F30008 1C223532
	buffer_load_dwordx4 a[64:67], v46, s[84:87], 0 offen       // 00000000377C: E05C1000 8095402E
	v_mfma_f32_16x16x32_fp8_fp8 v[8:11], a[52:53], a[28:29], v[8:11]// 000000003784: D3F30008 1C223934
	v_mfma_f32_16x16x32_fp8_fp8 v[8:11], a[54:55], a[30:31], v[8:11]// 00000000378C: D3F30008 1C223D36
	v_mul_f32_dpp v6, v24, v38 row_newbcast:0 row_mask:0xf bank_mask:0xf// 000000003794: 0A0C4CFA FF015018
	v_mfma_f32_16x16x32_fp8_fp8 v[12:15], a[48:49], a[32:33], 0// 00000000379C: D3F3000C 1A024130
	v_mfma_f32_16x16x32_fp8_fp8 v[12:15], a[50:51], a[34:35], v[12:15]// 0000000037A4: D3F3000C 1C324532
	buffer_load_dwordx4 a[68:71], v46, s[84:87], 0 offen offset:1024// 0000000037AC: E05C1400 8095442E
	v_mfma_f32_16x16x32_fp8_fp8 v[12:15], a[52:53], a[36:37], v[12:15]// 0000000037B4: D3F3000C 1C324934
	v_mfma_f32_16x16x32_fp8_fp8 v[12:15], a[54:55], a[38:39], v[12:15]// 0000000037BC: D3F3000C 1C324D36
	v_fma_f32 v48, v8, v4, v48                                 // 0000000037C4: D1CB0030 04C20908
	v_fma_f32 v49, v9, v4, v49                                 // 0000000037CC: D1CB0031 04C60909
	v_fma_f32 v50, v10, v4, v50                                // 0000000037D4: D1CB0032 04CA090A
	v_fma_f32 v51, v11, v4, v51                                // 0000000037DC: D1CB0033 04CE090B
	v_mul_f32_dpp v4, v24, v39 row_newbcast:0 row_mask:0xf bank_mask:0xf// 0000000037E4: 0A084EFA FF015018
	v_mfma_f32_16x16x32_fp8_fp8 v[8:11], a[48:49], a[40:41], 0 // 0000000037EC: D3F30008 1A025130
	v_mfma_f32_16x16x32_fp8_fp8 v[8:11], a[50:51], a[42:43], v[8:11]// 0000000037F4: D3F30008 1C225532
	buffer_load_dwordx4 a[72:75], v47, s[84:87], 0 offen       // 0000000037FC: E05C1000 8095482F
	v_mfma_f32_16x16x32_fp8_fp8 v[8:11], a[52:53], a[44:45], v[8:11]// 000000003804: D3F30008 1C225934
	v_mfma_f32_16x16x32_fp8_fp8 v[8:11], a[54:55], a[46:47], v[8:11]// 00000000380C: D3F30008 1C225D36
	v_fma_f32 v52, v12, v6, v52                                // 000000003814: D1CB0034 04D20D0C
	v_fma_f32 v53, v13, v6, v53                                // 00000000381C: D1CB0035 04D60D0D
	v_fma_f32 v54, v14, v6, v54                                // 000000003824: D1CB0036 04DA0D0E
	v_fma_f32 v55, v15, v6, v55                                // 00000000382C: D1CB0037 04DE0D0F
	s_waitcnt vmcnt(4)                                         // 000000003834: BF8C0F74
	v_mul_f32_dpp v6, v24, v37 row_newbcast:0 row_mask:0xf bank_mask:0xf// 000000003838: 0A0C4AFA FF015018
	v_mfma_f32_16x16x32_fp8_fp8 v[12:15], a[56:57], a[24:25], 0// 000000003840: D3F3000C 1A023138
	v_mfma_f32_16x16x32_fp8_fp8 v[12:15], a[58:59], a[26:27], v[12:15]// 000000003848: D3F3000C 1C32353A
	buffer_load_dwordx4 a[76:79], v47, s[84:87], 0 offen offset:1024// 000000003850: E05C1400 80954C2F
	buffer_load_dword v40, s[20:23], 0 offen lds               // 000000003858: E0511000 80050028
	s_add_u32 m0, 0x100, s49                                   // 000000003860: 807C31FF 00000100
	v_mfma_f32_16x16x32_fp8_fp8 v[12:15], a[60:61], a[28:29], v[12:15]// 000000003868: D3F3000C 1C32393C
	v_mfma_f32_16x16x32_fp8_fp8 v[12:15], a[62:63], a[30:31], v[12:15]// 000000003870: D3F3000C 1C323D3E
	buffer_load_dword v41, s[20:23], 0 offen lds               // 000000003878: E0511000 80050029
	s_add_u32 m0, 0x200, s49                                   // 000000003880: 807C31FF 00000200
	v_fma_f32 v56, v8, v4, v56                                 // 000000003888: D1CB0038 04E20908
	v_fma_f32 v57, v9, v4, v57                                 // 000000003890: D1CB0039 04E60909
	v_fma_f32 v58, v10, v4, v58                                // 000000003898: D1CB003A 04EA090A
	v_fma_f32 v59, v11, v4, v59                                // 0000000038A0: D1CB003B 04EE090B
	v_mul_f32_dpp v4, v24, v38 row_newbcast:0 row_mask:0xf bank_mask:0xf// 0000000038A8: 0A084CFA FF015018
	v_mfma_f32_16x16x32_fp8_fp8 v[8:11], a[56:57], a[32:33], 0 // 0000000038B0: D3F30008 1A024138
	v_mfma_f32_16x16x32_fp8_fp8 v[8:11], a[58:59], a[34:35], v[8:11]// 0000000038B8: D3F30008 1C22453A
	buffer_load_dword v42, s[20:23], 0 offen lds               // 0000000038C0: E0511000 8005002A
	s_add_u32 m0, 0x300, s49                                   // 0000000038C8: 807C31FF 00000300
	v_mfma_f32_16x16x32_fp8_fp8 v[8:11], a[60:61], a[36:37], v[8:11]// 0000000038D0: D3F30008 1C22493C
	v_mfma_f32_16x16x32_fp8_fp8 v[8:11], a[62:63], a[38:39], v[8:11]// 0000000038D8: D3F30008 1C224D3E
	buffer_load_dword v43, s[20:23], 0 offen lds               // 0000000038E0: E0511000 8005002B
	s_add_u32 m0, 0x400, s49                                   // 0000000038E8: 807C31FF 00000400
	v_fma_f32 v60, v12, v6, v60                                // 0000000038F0: D1CB003C 04F20D0C
	v_fma_f32 v61, v13, v6, v61                                // 0000000038F8: D1CB003D 04F60D0D
	v_fma_f32 v62, v14, v6, v62                                // 000000003900: D1CB003E 04FA0D0E
	v_fma_f32 v63, v15, v6, v63                                // 000000003908: D1CB003F 04FE0D0F
	v_mul_f32_dpp v6, v24, v39 row_newbcast:0 row_mask:0xf bank_mask:0xf// 000000003910: 0A0C4EFA FF015018
	v_mfma_f32_16x16x32_fp8_fp8 v[12:15], a[56:57], a[40:41], 0// 000000003918: D3F3000C 1A025138
	v_mfma_f32_16x16x32_fp8_fp8 v[12:15], a[58:59], a[42:43], v[12:15]// 000000003920: D3F3000C 1C32553A
	buffer_load_dword v44, s[20:23], 0 offen lds               // 000000003928: E0511000 8005002C
	s_add_u32 m0, 0x500, s49                                   // 000000003930: 807C31FF 00000500
	s_add_u32 s60, 0x80, s80                                   // 000000003938: 803C50FF 00000080
	s_cmp_lt_u32 s60, s81                                      // 000000003940: BF0A513C
	s_cselect_b32 s83, s83, 0                                  // 000000003944: 85538053
	s_cselect_b32 s4, s4, 0                                    // 000000003948: 85048004
	v_mfma_f32_16x16x32_fp8_fp8 v[12:15], a[60:61], a[44:45], v[12:15]// 00000000394C: D3F3000C 1C32593C
	s_add_u32 s32, s4, s32                                     // 000000003954: 80202004
	s_addc_u32 s33, 0, s33                                     // 000000003958: 82212180
	v_mfma_f32_16x16x32_fp8_fp8 v[12:15], a[62:63], a[46:47], v[12:15]// 00000000395C: D3F3000C 1C325D3E
	buffer_load_dword v45, s[20:23], 0 offen lds               // 000000003964: E0511000 8005002D
	s_add_u32 m0, 0, s48                                       // 00000000396C: 807C3080
	v_fma_f32 v64, v8, v4, v64                                 // 000000003970: D1CB0040 05020908
	v_fma_f32 v65, v9, v4, v65                                 // 000000003978: D1CB0041 05060909
	v_fma_f32 v66, v10, v4, v66                                // 000000003980: D1CB0042 050A090A
	v_fma_f32 v67, v11, v4, v67                                // 000000003988: D1CB0043 050E090B
	v_fma_f32 v68, v12, v6, v68                                // 000000003990: D1CB0044 05120D0C
	v_fma_f32 v69, v13, v6, v69                                // 000000003998: D1CB0045 05160D0D
	v_fma_f32 v70, v14, v6, v70                                // 0000000039A0: D1CB0046 051A0D0E
	v_fma_f32 v71, v15, v6, v71                                // 0000000039A8: D1CB0047 051E0D0F
	buffer_load_dword v34, v28, s[28:31], 0 offen              // 0000000039B0: E0501000 8007221C
	buffer_load_dword v35, v29, s[28:31], 0 offen              // 0000000039B8: E0501000 8007231D
	buffer_load_dword v36, v30, s[28:31], 0 offen              // 0000000039C0: E0501000 8007241E
	s_waitcnt vmcnt(9)                                         // 0000000039C8: BF8C0F79
	v_mul_f32_dpp v4, v27, v37 row_newbcast:0 row_mask:0xf bank_mask:0xf// 0000000039CC: 0A084AFA FF01501B
	v_mfma_f32_16x16x32_fp8_fp8 v[8:11], a[64:65], a[24:25], 0 // 0000000039D4: D3F30008 1A023140
	buffer_load_dword v24, v22, s[32:35], 0 offen              // 0000000039DC: E0501000 80081816
	v_mfma_f32_16x16x32_fp8_fp8 v[8:11], a[66:67], a[26:27], v[8:11]// 0000000039E4: D3F30008 1C223542
	buffer_load_dwordx4 a[48:51], v46, s[24:27], 0 offen       // 0000000039EC: E05C1000 8086302E
	v_mfma_f32_16x16x32_fp8_fp8 v[8:11], a[68:69], a[28:29], v[8:11]// 0000000039F4: D3F30008 1C223944
	v_mfma_f32_16x16x32_fp8_fp8 v[8:11], a[70:71], a[30:31], v[8:11]// 0000000039FC: D3F30008 1C223D46
	ds_read_b128 a[0:3], v2                                    // 000000003A04: DBFE0000 00000002
	ds_read_b128 a[4:7], v2 offset:64                          // 000000003A0C: DBFE0040 04000002
	v_mfma_f32_16x16x32_fp8_fp8 v[12:15], a[72:73], a[24:25], 0// 000000003A14: D3F3000C 1A023148
	v_mfma_f32_16x16x32_fp8_fp8 v[12:15], a[74:75], a[26:27], v[12:15]// 000000003A1C: D3F3000C 1C32354A
	buffer_load_dwordx4 a[52:55], v46, s[24:27], 0 offen offset:1024// 000000003A24: E05C1400 8086342E
	v_mfma_f32_16x16x32_fp8_fp8 v[12:15], a[76:77], a[28:29], v[12:15]// 000000003A2C: D3F3000C 1C32394C
	v_mfma_f32_16x16x32_fp8_fp8 v[12:15], a[78:79], a[30:31], v[12:15]// 000000003A34: D3F3000C 1C323D4E
	ds_read_b128 a[8:11], v2 offset:512                        // 000000003A3C: DBFE0200 08000002
	ds_read_b128 a[12:15], v2 offset:576                       // 000000003A44: DBFE0240 0C000002
	v_fma_f32 v72, v8, v4, v72                                 // 000000003A4C: D1CB0048 05220908
	v_fma_f32 v73, v9, v4, v73                                 // 000000003A54: D1CB0049 05260909
	v_fma_f32 v74, v10, v4, v74                                // 000000003A5C: D1CB004A 052A090A
	v_fma_f32 v75, v11, v4, v75                                // 000000003A64: D1CB004B 052E090B
	v_mul_f32_dpp v6, v27, v38 row_newbcast:0 row_mask:0xf bank_mask:0xf// 000000003A6C: 0A0C4CFA FF01501B
	v_mfma_f32_16x16x32_fp8_fp8 v[8:11], a[64:65], a[32:33], 0 // 000000003A74: D3F30008 1A024140
	v_mfma_f32_16x16x32_fp8_fp8 v[8:11], a[66:67], a[34:35], v[8:11]// 000000003A7C: D3F30008 1C224542
	buffer_load_dwordx4 a[56:59], v47, s[24:27], 0 offen       // 000000003A84: E05C1000 8086382F
	v_mfma_f32_16x16x32_fp8_fp8 v[8:11], a[68:69], a[36:37], v[8:11]// 000000003A8C: D3F30008 1C224944
	v_mfma_f32_16x16x32_fp8_fp8 v[8:11], a[70:71], a[38:39], v[8:11]// 000000003A94: D3F30008 1C224D46
	ds_read_b128 a[16:19], v2 offset:1024                      // 000000003A9C: DBFE0400 10000002
	ds_read_b128 a[20:23], v2 offset:1088                      // 000000003AA4: DBFE0440 14000002
	v_fma_f32 v84, v12, v4, v84                                // 000000003AAC: D1CB0054 0552090C
	v_fma_f32 v85, v13, v4, v85                                // 000000003AB4: D1CB0055 0556090D
	v_fma_f32 v86, v14, v4, v86                                // 000000003ABC: D1CB0056 055A090E
	v_fma_f32 v87, v15, v4, v87                                // 000000003AC4: D1CB0057 055E090F
	v_mfma_f32_16x16x32_fp8_fp8 v[12:15], a[72:73], a[32:33], 0// 000000003ACC: D3F3000C 1A024148
	v_mfma_f32_16x16x32_fp8_fp8 v[12:15], a[74:75], a[34:35], v[12:15]// 000000003AD4: D3F3000C 1C32454A
	buffer_load_dwordx4 a[60:63], v47, s[24:27], 0 offen offset:1024// 000000003ADC: E05C1400 80863C2F
	v_mfma_f32_16x16x32_fp8_fp8 v[12:15], a[76:77], a[36:37], v[12:15]// 000000003AE4: D3F3000C 1C32494C
	v_mfma_f32_16x16x32_fp8_fp8 v[12:15], a[78:79], a[38:39], v[12:15]// 000000003AEC: D3F3000C 1C324D4E
	v_fma_f32 v76, v8, v6, v76                                 // 000000003AF4: D1CB004C 05320D08
	v_fma_f32 v77, v9, v6, v77                                 // 000000003AFC: D1CB004D 05360D09
	v_fma_f32 v78, v10, v6, v78                                // 000000003B04: D1CB004E 053A0D0A
	v_fma_f32 v79, v11, v6, v79                                // 000000003B0C: D1CB004F 053E0D0B
	v_mul_f32_dpp v4, v27, v39 row_newbcast:0 row_mask:0xf bank_mask:0xf// 000000003B14: 0A084EFA FF01501B
	v_mfma_f32_16x16x32_fp8_fp8 v[8:11], a[64:65], a[40:41], 0 // 000000003B1C: D3F30008 1A025140
	v_mfma_f32_16x16x32_fp8_fp8 v[8:11], a[66:67], a[42:43], v[8:11]// 000000003B24: D3F30008 1C225542
	v_mfma_f32_16x16x32_fp8_fp8 v[8:11], a[68:69], a[44:45], v[8:11]// 000000003B2C: D3F30008 1C225944
	s_add_u32 s60, 0x180, s80                                  // 000000003B34: 803C50FF 00000180
	s_cmp_lt_u32 s60, s81                                      // 000000003B3C: BF0A513C
	s_cselect_b32 s57, s57, 0                                  // 000000003B40: 85398039
	s_cselect_b32 s3, s3, 0                                    // 000000003B44: 85038003
	v_mfma_f32_16x16x32_fp8_fp8 v[8:11], a[70:71], a[46:47], v[8:11]// 000000003B48: D3F30008 1C225D46
	s_add_u32 s60, 0x100, s80                                  // 000000003B50: 803C50FF 00000100
	s_cmp_lt_u32 s60, s81                                      // 000000003B58: BF0A513C
	s_cselect_b32 s58, s58, 0                                  // 000000003B5C: 853A803A
	v_fma_f32 v88, v12, v6, v88                                // 000000003B60: D1CB0058 05620D0C
	v_fma_f32 v89, v13, v6, v89                                // 000000003B68: D1CB0059 05660D0D
	v_fma_f32 v90, v14, v6, v90                                // 000000003B70: D1CB005A 056A0D0E
	v_fma_f32 v91, v15, v6, v91                                // 000000003B78: D1CB005B 056E0D0F
	v_mfma_f32_16x16x32_fp8_fp8 v[12:15], a[72:73], a[40:41], 0// 000000003B80: D3F3000C 1A025148
	s_add_u32 s24, s58, s24                                    // 000000003B88: 8018183A
	s_addc_u32 s25, 0, s25                                     // 000000003B8C: 82191980
	v_mfma_f32_16x16x32_fp8_fp8 v[12:15], a[74:75], a[42:43], v[12:15]// 000000003B90: D3F3000C 1C32554A
	s_add_u32 s20, s57, s20                                    // 000000003B98: 80141439
	s_addc_u32 s21, 0, s21                                     // 000000003B9C: 82151580
	s_add_u32 s28, s3, s28                                     // 000000003BA0: 801C1C03
	s_addc_u32 s29, 0, s29                                     // 000000003BA4: 821D1D80
	v_mfma_f32_16x16x32_fp8_fp8 v[12:15], a[76:77], a[44:45], v[12:15]// 000000003BA8: D3F3000C 1C32594C
	s_add_u32 s84, s83, s84                                    // 000000003BB0: 80545453
	s_addc_u32 s85, 0, s85                                     // 000000003BB4: 82555580
	v_mfma_f32_16x16x32_fp8_fp8 v[12:15], a[78:79], a[46:47], v[12:15]// 000000003BB8: D3F3000C 1C325D4E
	v_fma_f32 v80, v8, v4, v80                                 // 000000003BC0: D1CB0050 05420908
	v_fma_f32 v81, v9, v4, v81                                 // 000000003BC8: D1CB0051 05460909
	v_fma_f32 v82, v10, v4, v82                                // 000000003BD0: D1CB0052 054A090A
	v_fma_f32 v83, v11, v4, v83                                // 000000003BD8: D1CB0053 054E090B
	v_fma_f32 v92, v12, v4, v92                                // 000000003BE0: D1CB005C 0572090C
	v_fma_f32 v93, v13, v4, v93                                // 000000003BE8: D1CB005D 0576090D
	v_fma_f32 v94, v14, v4, v94                                // 000000003BF0: D1CB005E 057A090E
	v_fma_f32 v95, v15, v4, v95                                // 000000003BF8: D1CB005F 057E090F
	s_addk_i32 s80, 0x80                                       // 000000003C00: B7500080
	s_cmp_lt_i32 s80, s81                                      // 000000003C04: BF045150
	s_cbranch_scc0 label_0484                                  // 000000003C08: BF840001
	s_branch label_0221                                        // 000000003C0C: BF82FD9D

0000000000003c10 <label_0484>:
	s_cmp_eq_u32 s88, 0                                        // 000000003C10: BF068058
	s_cbranch_scc0 label_08B8                                  // 000000003C14: BF840432
	s_cmp_eq_u32 s89, 0                                        // 000000003C18: BF068059
	s_cbranch_scc1 label_057D                                  // 000000003C1C: BF8500F5
	v_mov_b32_e32 v8, v1                                       // 000000003C20: 7E100301
	v_mov_b32_e32 v9, v1                                       // 000000003C24: 7E120301
	s_mov_b32 s60, s6                                          // 000000003C28: BEBC0006
	s_mov_b32 s61, s6                                          // 000000003C2C: BEBD0006
	v_pk_mul_f32 v[4:5], v[48:49], v[48:49]                    // 000000003C30: D3B14004 18026130
	v_pk_mul_f32 v[6:7], v[50:51], v[50:51]                    // 000000003C38: D3B14006 18026532
	v_pk_fma_f32 v[4:5], v[4:5], s[78:79], v[8:9]              // 000000003C40: D3B04004 1C209D04
	v_pk_fma_f32 v[6:7], v[6:7], s[78:79], v[8:9]              // 000000003C48: D3B04006 1C209D06
	v_pk_mul_f32 v[4:5], v[4:5], v[48:49]                      // 000000003C50: D3B14004 18026104
	v_pk_mul_f32 v[6:7], v[6:7], v[50:51]                      // 000000003C58: D3B14006 18026506
	v_pk_mul_f32 v[4:5], v[4:5], s[60:61]                      // 000000003C60: D3B14004 18007904
	v_pk_mul_f32 v[6:7], v[6:7], s[60:61]                      // 000000003C68: D3B14006 18007906
	v_exp_f32_e32 v4, v4                                       // 000000003C70: 7E084104
	v_exp_f32_e32 v5, v5                                       // 000000003C74: 7E0A4105
	v_exp_f32_e32 v6, v6                                       // 000000003C78: 7E0C4106
	v_exp_f32_e32 v7, v7                                       // 000000003C7C: 7E0E4107
	v_add_f32_e64 v4, v4, 1.0                                  // 000000003C80: D1010004 0001E504
	v_add_f32_e64 v5, v5, 1.0                                  // 000000003C88: D1010005 0001E505
	v_add_f32_e64 v6, v6, 1.0                                  // 000000003C90: D1010006 0001E506
	v_add_f32_e64 v7, v7, 1.0                                  // 000000003C98: D1010007 0001E507
	v_rcp_f32_e32 v4, v4                                       // 000000003CA0: 7E084504
	v_rcp_f32_e32 v5, v5                                       // 000000003CA4: 7E0A4505
	v_rcp_f32_e32 v6, v6                                       // 000000003CA8: 7E0C4506
	v_rcp_f32_e32 v7, v7                                       // 000000003CAC: 7E0E4507
	v_mul_f32_e32 v48, v48, v4                                 // 000000003CB0: 0A600930
	v_mul_f32_e32 v49, v49, v5                                 // 000000003CB4: 0A620B31
	v_mul_f32_e32 v50, v50, v6                                 // 000000003CB8: 0A640D32
	v_mul_f32_e32 v51, v51, v7                                 // 000000003CBC: 0A660F33
	v_mul_f32_e32 v48, v48, v72                                // 000000003CC0: 0A609130
	v_mul_f32_e32 v49, v49, v73                                // 000000003CC4: 0A629331
	v_mul_f32_e32 v50, v50, v74                                // 000000003CC8: 0A649532
	v_mul_f32_e32 v51, v51, v75                                // 000000003CCC: 0A669733
	v_pk_mul_f32 v[4:5], v[52:53], v[52:53]                    // 000000003CD0: D3B14004 18026934
	v_pk_mul_f32 v[6:7], v[54:55], v[54:55]                    // 000000003CD8: D3B14006 18026D36
	v_pk_fma_f32 v[4:5], v[4:5], s[78:79], v[8:9]              // 000000003CE0: D3B04004 1C209D04
	v_pk_fma_f32 v[6:7], v[6:7], s[78:79], v[8:9]              // 000000003CE8: D3B04006 1C209D06
	v_pk_mul_f32 v[4:5], v[4:5], v[52:53]                      // 000000003CF0: D3B14004 18026904
	v_pk_mul_f32 v[6:7], v[6:7], v[54:55]                      // 000000003CF8: D3B14006 18026D06
	v_pk_mul_f32 v[4:5], v[4:5], s[60:61]                      // 000000003D00: D3B14004 18007904
	v_pk_mul_f32 v[6:7], v[6:7], s[60:61]                      // 000000003D08: D3B14006 18007906
	v_exp_f32_e32 v4, v4                                       // 000000003D10: 7E084104
	v_exp_f32_e32 v5, v5                                       // 000000003D14: 7E0A4105
	v_exp_f32_e32 v6, v6                                       // 000000003D18: 7E0C4106
	v_exp_f32_e32 v7, v7                                       // 000000003D1C: 7E0E4107
	v_add_f32_e64 v4, v4, 1.0                                  // 000000003D20: D1010004 0001E504
	v_add_f32_e64 v5, v5, 1.0                                  // 000000003D28: D1010005 0001E505
	v_add_f32_e64 v6, v6, 1.0                                  // 000000003D30: D1010006 0001E506
	v_add_f32_e64 v7, v7, 1.0                                  // 000000003D38: D1010007 0001E507
	v_rcp_f32_e32 v4, v4                                       // 000000003D40: 7E084504
	v_rcp_f32_e32 v5, v5                                       // 000000003D44: 7E0A4505
	v_rcp_f32_e32 v6, v6                                       // 000000003D48: 7E0C4506
	v_rcp_f32_e32 v7, v7                                       // 000000003D4C: 7E0E4507
	v_mul_f32_e32 v52, v52, v4                                 // 000000003D50: 0A680934
	v_mul_f32_e32 v53, v53, v5                                 // 000000003D54: 0A6A0B35
	v_mul_f32_e32 v54, v54, v6                                 // 000000003D58: 0A6C0D36
	v_mul_f32_e32 v55, v55, v7                                 // 000000003D5C: 0A6E0F37
	v_mul_f32_e32 v52, v52, v76                                // 000000003D60: 0A689934
	v_mul_f32_e32 v53, v53, v77                                // 000000003D64: 0A6A9B35
	v_mul_f32_e32 v54, v54, v78                                // 000000003D68: 0A6C9D36
	v_mul_f32_e32 v55, v55, v79                                // 000000003D6C: 0A6E9F37
	v_pk_mul_f32 v[4:5], v[56:57], v[56:57]                    // 000000003D70: D3B14004 18027138
	v_pk_mul_f32 v[6:7], v[58:59], v[58:59]                    // 000000003D78: D3B14006 1802753A
	v_pk_fma_f32 v[4:5], v[4:5], s[78:79], v[8:9]              // 000000003D80: D3B04004 1C209D04
	v_pk_fma_f32 v[6:7], v[6:7], s[78:79], v[8:9]              // 000000003D88: D3B04006 1C209D06
	v_pk_mul_f32 v[4:5], v[4:5], v[56:57]                      // 000000003D90: D3B14004 18027104
	v_pk_mul_f32 v[6:7], v[6:7], v[58:59]                      // 000000003D98: D3B14006 18027506
	v_pk_mul_f32 v[4:5], v[4:5], s[60:61]                      // 000000003DA0: D3B14004 18007904
	v_pk_mul_f32 v[6:7], v[6:7], s[60:61]                      // 000000003DA8: D3B14006 18007906
	v_exp_f32_e32 v4, v4                                       // 000000003DB0: 7E084104
	v_exp_f32_e32 v5, v5                                       // 000000003DB4: 7E0A4105
	v_exp_f32_e32 v6, v6                                       // 000000003DB8: 7E0C4106
	v_exp_f32_e32 v7, v7                                       // 000000003DBC: 7E0E4107
	v_add_f32_e64 v4, v4, 1.0                                  // 000000003DC0: D1010004 0001E504
	v_add_f32_e64 v5, v5, 1.0                                  // 000000003DC8: D1010005 0001E505
	v_add_f32_e64 v6, v6, 1.0                                  // 000000003DD0: D1010006 0001E506
	v_add_f32_e64 v7, v7, 1.0                                  // 000000003DD8: D1010007 0001E507
	v_rcp_f32_e32 v4, v4                                       // 000000003DE0: 7E084504
	v_rcp_f32_e32 v5, v5                                       // 000000003DE4: 7E0A4505
	v_rcp_f32_e32 v6, v6                                       // 000000003DE8: 7E0C4506
	v_rcp_f32_e32 v7, v7                                       // 000000003DEC: 7E0E4507
	v_mul_f32_e32 v56, v56, v4                                 // 000000003DF0: 0A700938
	v_mul_f32_e32 v57, v57, v5                                 // 000000003DF4: 0A720B39
	v_mul_f32_e32 v58, v58, v6                                 // 000000003DF8: 0A740D3A
	v_mul_f32_e32 v59, v59, v7                                 // 000000003DFC: 0A760F3B
	v_mul_f32_e32 v56, v56, v80                                // 000000003E00: 0A70A138
	v_mul_f32_e32 v57, v57, v81                                // 000000003E04: 0A72A339
	v_mul_f32_e32 v58, v58, v82                                // 000000003E08: 0A74A53A
	v_mul_f32_e32 v59, v59, v83                                // 000000003E0C: 0A76A73B
	v_pk_mul_f32 v[4:5], v[60:61], v[60:61]                    // 000000003E10: D3B14004 1802793C
	v_pk_mul_f32 v[6:7], v[62:63], v[62:63]                    // 000000003E18: D3B14006 18027D3E
	v_pk_fma_f32 v[4:5], v[4:5], s[78:79], v[8:9]              // 000000003E20: D3B04004 1C209D04
	v_pk_fma_f32 v[6:7], v[6:7], s[78:79], v[8:9]              // 000000003E28: D3B04006 1C209D06
	v_pk_mul_f32 v[4:5], v[4:5], v[60:61]                      // 000000003E30: D3B14004 18027904
	v_pk_mul_f32 v[6:7], v[6:7], v[62:63]                      // 000000003E38: D3B14006 18027D06
	v_pk_mul_f32 v[4:5], v[4:5], s[60:61]                      // 000000003E40: D3B14004 18007904
	v_pk_mul_f32 v[6:7], v[6:7], s[60:61]                      // 000000003E48: D3B14006 18007906
	v_exp_f32_e32 v4, v4                                       // 000000003E50: 7E084104
	v_exp_f32_e32 v5, v5                                       // 000000003E54: 7E0A4105
	v_exp_f32_e32 v6, v6                                       // 000000003E58: 7E0C4106
	v_exp_f32_e32 v7, v7                                       // 000000003E5C: 7E0E4107
	v_add_f32_e64 v4, v4, 1.0                                  // 000000003E60: D1010004 0001E504
	v_add_f32_e64 v5, v5, 1.0                                  // 000000003E68: D1010005 0001E505
	v_add_f32_e64 v6, v6, 1.0                                  // 000000003E70: D1010006 0001E506
	v_add_f32_e64 v7, v7, 1.0                                  // 000000003E78: D1010007 0001E507
	v_rcp_f32_e32 v4, v4                                       // 000000003E80: 7E084504
	v_rcp_f32_e32 v5, v5                                       // 000000003E84: 7E0A4505
	v_rcp_f32_e32 v6, v6                                       // 000000003E88: 7E0C4506
	v_rcp_f32_e32 v7, v7                                       // 000000003E8C: 7E0E4507
	v_mul_f32_e32 v60, v60, v4                                 // 000000003E90: 0A78093C
	v_mul_f32_e32 v61, v61, v5                                 // 000000003E94: 0A7A0B3D
	v_mul_f32_e32 v62, v62, v6                                 // 000000003E98: 0A7C0D3E
	v_mul_f32_e32 v63, v63, v7                                 // 000000003E9C: 0A7E0F3F
	v_mul_f32_e32 v60, v60, v84                                // 000000003EA0: 0A78A93C
	v_mul_f32_e32 v61, v61, v85                                // 000000003EA4: 0A7AAB3D
	v_mul_f32_e32 v62, v62, v86                                // 000000003EA8: 0A7CAD3E
	v_mul_f32_e32 v63, v63, v87                                // 000000003EAC: 0A7EAF3F
	v_pk_mul_f32 v[4:5], v[64:65], v[64:65]                    // 000000003EB0: D3B14004 18028140
	v_pk_mul_f32 v[6:7], v[66:67], v[66:67]                    // 000000003EB8: D3B14006 18028542
	v_pk_fma_f32 v[4:5], v[4:5], s[78:79], v[8:9]              // 000000003EC0: D3B04004 1C209D04
	v_pk_fma_f32 v[6:7], v[6:7], s[78:79], v[8:9]              // 000000003EC8: D3B04006 1C209D06
	v_pk_mul_f32 v[4:5], v[4:5], v[64:65]                      // 000000003ED0: D3B14004 18028104
	v_pk_mul_f32 v[6:7], v[6:7], v[66:67]                      // 000000003ED8: D3B14006 18028506
	v_pk_mul_f32 v[4:5], v[4:5], s[60:61]                      // 000000003EE0: D3B14004 18007904
	v_pk_mul_f32 v[6:7], v[6:7], s[60:61]                      // 000000003EE8: D3B14006 18007906
	v_exp_f32_e32 v4, v4                                       // 000000003EF0: 7E084104
	v_exp_f32_e32 v5, v5                                       // 000000003EF4: 7E0A4105
	v_exp_f32_e32 v6, v6                                       // 000000003EF8: 7E0C4106
	v_exp_f32_e32 v7, v7                                       // 000000003EFC: 7E0E4107
	v_add_f32_e64 v4, v4, 1.0                                  // 000000003F00: D1010004 0001E504
	v_add_f32_e64 v5, v5, 1.0                                  // 000000003F08: D1010005 0001E505
	v_add_f32_e64 v6, v6, 1.0                                  // 000000003F10: D1010006 0001E506
	v_add_f32_e64 v7, v7, 1.0                                  // 000000003F18: D1010007 0001E507
	v_rcp_f32_e32 v4, v4                                       // 000000003F20: 7E084504
	v_rcp_f32_e32 v5, v5                                       // 000000003F24: 7E0A4505
	v_rcp_f32_e32 v6, v6                                       // 000000003F28: 7E0C4506
	v_rcp_f32_e32 v7, v7                                       // 000000003F2C: 7E0E4507
	v_mul_f32_e32 v64, v64, v4                                 // 000000003F30: 0A800940
	v_mul_f32_e32 v65, v65, v5                                 // 000000003F34: 0A820B41
	v_mul_f32_e32 v66, v66, v6                                 // 000000003F38: 0A840D42
	v_mul_f32_e32 v67, v67, v7                                 // 000000003F3C: 0A860F43
	v_mul_f32_e32 v64, v64, v88                                // 000000003F40: 0A80B140
	v_mul_f32_e32 v65, v65, v89                                // 000000003F44: 0A82B341
	v_mul_f32_e32 v66, v66, v90                                // 000000003F48: 0A84B542
	v_mul_f32_e32 v67, v67, v91                                // 000000003F4C: 0A86B743
	v_pk_mul_f32 v[4:5], v[68:69], v[68:69]                    // 000000003F50: D3B14004 18028944
	v_pk_mul_f32 v[6:7], v[70:71], v[70:71]                    // 000000003F58: D3B14006 18028D46
	v_pk_fma_f32 v[4:5], v[4:5], s[78:79], v[8:9]              // 000000003F60: D3B04004 1C209D04
	v_pk_fma_f32 v[6:7], v[6:7], s[78:79], v[8:9]              // 000000003F68: D3B04006 1C209D06
	v_pk_mul_f32 v[4:5], v[4:5], v[68:69]                      // 000000003F70: D3B14004 18028904
	v_pk_mul_f32 v[6:7], v[6:7], v[70:71]                      // 000000003F78: D3B14006 18028D06
	v_pk_mul_f32 v[4:5], v[4:5], s[60:61]                      // 000000003F80: D3B14004 18007904
	v_pk_mul_f32 v[6:7], v[6:7], s[60:61]                      // 000000003F88: D3B14006 18007906
	v_exp_f32_e32 v4, v4                                       // 000000003F90: 7E084104
	v_exp_f32_e32 v5, v5                                       // 000000003F94: 7E0A4105
	v_exp_f32_e32 v6, v6                                       // 000000003F98: 7E0C4106
	v_exp_f32_e32 v7, v7                                       // 000000003F9C: 7E0E4107
	v_add_f32_e64 v4, v4, 1.0                                  // 000000003FA0: D1010004 0001E504
	v_add_f32_e64 v5, v5, 1.0                                  // 000000003FA8: D1010005 0001E505
	v_add_f32_e64 v6, v6, 1.0                                  // 000000003FB0: D1010006 0001E506
	v_add_f32_e64 v7, v7, 1.0                                  // 000000003FB8: D1010007 0001E507
	v_rcp_f32_e32 v4, v4                                       // 000000003FC0: 7E084504
	v_rcp_f32_e32 v5, v5                                       // 000000003FC4: 7E0A4505
	v_rcp_f32_e32 v6, v6                                       // 000000003FC8: 7E0C4506
	v_rcp_f32_e32 v7, v7                                       // 000000003FCC: 7E0E4507
	v_mul_f32_e32 v68, v68, v4                                 // 000000003FD0: 0A880944
	v_mul_f32_e32 v69, v69, v5                                 // 000000003FD4: 0A8A0B45
	v_mul_f32_e32 v70, v70, v6                                 // 000000003FD8: 0A8C0D46
	v_mul_f32_e32 v71, v71, v7                                 // 000000003FDC: 0A8E0F47
	v_mul_f32_e32 v68, v68, v92                                // 000000003FE0: 0A88B944
	v_mul_f32_e32 v69, v69, v93                                // 000000003FE4: 0A8ABB45
	v_mul_f32_e32 v70, v70, v94                                // 000000003FE8: 0A8CBD46
	v_mul_f32_e32 v71, v71, v95                                // 000000003FEC: 0A8EBF47
	s_branch label_063D                                        // 000000003FF0: BF8200C0

0000000000003ff4 <label_057D>:
	v_mul_f32_e64 v4, -v48, s6                                 // 000000003FF4: D1050004 20000D30
	v_mul_f32_e64 v5, -v49, s6                                 // 000000003FFC: D1050005 20000D31
	v_mul_f32_e64 v6, -v50, s6                                 // 000000004004: D1050006 20000D32
	v_mul_f32_e64 v7, -v51, s6                                 // 00000000400C: D1050007 20000D33
	v_exp_f32_e32 v4, v4                                       // 000000004014: 7E084104
	v_exp_f32_e32 v5, v5                                       // 000000004018: 7E0A4105
	v_exp_f32_e32 v6, v6                                       // 00000000401C: 7E0C4106
	v_exp_f32_e32 v7, v7                                       // 000000004020: 7E0E4107
	v_add_f32_e64 v4, v4, 1.0                                  // 000000004024: D1010004 0001E504
	v_add_f32_e64 v5, v5, 1.0                                  // 00000000402C: D1010005 0001E505
	v_add_f32_e64 v6, v6, 1.0                                  // 000000004034: D1010006 0001E506
	v_add_f32_e64 v7, v7, 1.0                                  // 00000000403C: D1010007 0001E507
	v_rcp_f32_e32 v4, v4                                       // 000000004044: 7E084504
	v_rcp_f32_e32 v5, v5                                       // 000000004048: 7E0A4505
	v_rcp_f32_e32 v6, v6                                       // 00000000404C: 7E0C4506
	v_rcp_f32_e32 v7, v7                                       // 000000004050: 7E0E4507
	v_mul_f32_e32 v48, v48, v4                                 // 000000004054: 0A600930
	v_mul_f32_e32 v49, v49, v5                                 // 000000004058: 0A620B31
	v_mul_f32_e32 v50, v50, v6                                 // 00000000405C: 0A640D32
	v_mul_f32_e32 v51, v51, v7                                 // 000000004060: 0A660F33
	v_mul_f32_e32 v48, v48, v72                                // 000000004064: 0A609130
	v_mul_f32_e32 v49, v49, v73                                // 000000004068: 0A629331
	v_mul_f32_e32 v50, v50, v74                                // 00000000406C: 0A649532
	v_mul_f32_e32 v51, v51, v75                                // 000000004070: 0A669733
	v_mul_f32_e64 v4, -v52, s6                                 // 000000004074: D1050004 20000D34
	v_mul_f32_e64 v5, -v53, s6                                 // 00000000407C: D1050005 20000D35
	v_mul_f32_e64 v6, -v54, s6                                 // 000000004084: D1050006 20000D36
	v_mul_f32_e64 v7, -v55, s6                                 // 00000000408C: D1050007 20000D37
	v_exp_f32_e32 v4, v4                                       // 000000004094: 7E084104
	v_exp_f32_e32 v5, v5                                       // 000000004098: 7E0A4105
	v_exp_f32_e32 v6, v6                                       // 00000000409C: 7E0C4106
	v_exp_f32_e32 v7, v7                                       // 0000000040A0: 7E0E4107
	v_add_f32_e64 v4, v4, 1.0                                  // 0000000040A4: D1010004 0001E504
	v_add_f32_e64 v5, v5, 1.0                                  // 0000000040AC: D1010005 0001E505
	v_add_f32_e64 v6, v6, 1.0                                  // 0000000040B4: D1010006 0001E506
	v_add_f32_e64 v7, v7, 1.0                                  // 0000000040BC: D1010007 0001E507
	v_rcp_f32_e32 v4, v4                                       // 0000000040C4: 7E084504
	v_rcp_f32_e32 v5, v5                                       // 0000000040C8: 7E0A4505
	v_rcp_f32_e32 v6, v6                                       // 0000000040CC: 7E0C4506
	v_rcp_f32_e32 v7, v7                                       // 0000000040D0: 7E0E4507
	v_mul_f32_e32 v52, v52, v4                                 // 0000000040D4: 0A680934
	v_mul_f32_e32 v53, v53, v5                                 // 0000000040D8: 0A6A0B35
	v_mul_f32_e32 v54, v54, v6                                 // 0000000040DC: 0A6C0D36
	v_mul_f32_e32 v55, v55, v7                                 // 0000000040E0: 0A6E0F37
	v_mul_f32_e32 v52, v52, v76                                // 0000000040E4: 0A689934
	v_mul_f32_e32 v53, v53, v77                                // 0000000040E8: 0A6A9B35
	v_mul_f32_e32 v54, v54, v78                                // 0000000040EC: 0A6C9D36
	v_mul_f32_e32 v55, v55, v79                                // 0000000040F0: 0A6E9F37
	v_mul_f32_e64 v4, -v56, s6                                 // 0000000040F4: D1050004 20000D38
	v_mul_f32_e64 v5, -v57, s6                                 // 0000000040FC: D1050005 20000D39
	v_mul_f32_e64 v6, -v58, s6                                 // 000000004104: D1050006 20000D3A
	v_mul_f32_e64 v7, -v59, s6                                 // 00000000410C: D1050007 20000D3B
	v_exp_f32_e32 v4, v4                                       // 000000004114: 7E084104
	v_exp_f32_e32 v5, v5                                       // 000000004118: 7E0A4105
	v_exp_f32_e32 v6, v6                                       // 00000000411C: 7E0C4106
	v_exp_f32_e32 v7, v7                                       // 000000004120: 7E0E4107
	v_add_f32_e64 v4, v4, 1.0                                  // 000000004124: D1010004 0001E504
	v_add_f32_e64 v5, v5, 1.0                                  // 00000000412C: D1010005 0001E505
	v_add_f32_e64 v6, v6, 1.0                                  // 000000004134: D1010006 0001E506
	v_add_f32_e64 v7, v7, 1.0                                  // 00000000413C: D1010007 0001E507
	v_rcp_f32_e32 v4, v4                                       // 000000004144: 7E084504
	v_rcp_f32_e32 v5, v5                                       // 000000004148: 7E0A4505
	v_rcp_f32_e32 v6, v6                                       // 00000000414C: 7E0C4506
	v_rcp_f32_e32 v7, v7                                       // 000000004150: 7E0E4507
	v_mul_f32_e32 v56, v56, v4                                 // 000000004154: 0A700938
	v_mul_f32_e32 v57, v57, v5                                 // 000000004158: 0A720B39
	v_mul_f32_e32 v58, v58, v6                                 // 00000000415C: 0A740D3A
	v_mul_f32_e32 v59, v59, v7                                 // 000000004160: 0A760F3B
	v_mul_f32_e32 v56, v56, v80                                // 000000004164: 0A70A138
	v_mul_f32_e32 v57, v57, v81                                // 000000004168: 0A72A339
	v_mul_f32_e32 v58, v58, v82                                // 00000000416C: 0A74A53A
	v_mul_f32_e32 v59, v59, v83                                // 000000004170: 0A76A73B
	v_mul_f32_e64 v4, -v60, s6                                 // 000000004174: D1050004 20000D3C
	v_mul_f32_e64 v5, -v61, s6                                 // 00000000417C: D1050005 20000D3D
	v_mul_f32_e64 v6, -v62, s6                                 // 000000004184: D1050006 20000D3E
	v_mul_f32_e64 v7, -v63, s6                                 // 00000000418C: D1050007 20000D3F
	v_exp_f32_e32 v4, v4                                       // 000000004194: 7E084104
	v_exp_f32_e32 v5, v5                                       // 000000004198: 7E0A4105
	v_exp_f32_e32 v6, v6                                       // 00000000419C: 7E0C4106
	v_exp_f32_e32 v7, v7                                       // 0000000041A0: 7E0E4107
	v_add_f32_e64 v4, v4, 1.0                                  // 0000000041A4: D1010004 0001E504
	v_add_f32_e64 v5, v5, 1.0                                  // 0000000041AC: D1010005 0001E505
	v_add_f32_e64 v6, v6, 1.0                                  // 0000000041B4: D1010006 0001E506
	v_add_f32_e64 v7, v7, 1.0                                  // 0000000041BC: D1010007 0001E507
	v_rcp_f32_e32 v4, v4                                       // 0000000041C4: 7E084504
	v_rcp_f32_e32 v5, v5                                       // 0000000041C8: 7E0A4505
	v_rcp_f32_e32 v6, v6                                       // 0000000041CC: 7E0C4506
	v_rcp_f32_e32 v7, v7                                       // 0000000041D0: 7E0E4507
	v_mul_f32_e32 v60, v60, v4                                 // 0000000041D4: 0A78093C
	v_mul_f32_e32 v61, v61, v5                                 // 0000000041D8: 0A7A0B3D
	v_mul_f32_e32 v62, v62, v6                                 // 0000000041DC: 0A7C0D3E
	v_mul_f32_e32 v63, v63, v7                                 // 0000000041E0: 0A7E0F3F
	v_mul_f32_e32 v60, v60, v84                                // 0000000041E4: 0A78A93C
	v_mul_f32_e32 v61, v61, v85                                // 0000000041E8: 0A7AAB3D
	v_mul_f32_e32 v62, v62, v86                                // 0000000041EC: 0A7CAD3E
	v_mul_f32_e32 v63, v63, v87                                // 0000000041F0: 0A7EAF3F
	v_mul_f32_e64 v4, -v64, s6                                 // 0000000041F4: D1050004 20000D40
	v_mul_f32_e64 v5, -v65, s6                                 // 0000000041FC: D1050005 20000D41
	v_mul_f32_e64 v6, -v66, s6                                 // 000000004204: D1050006 20000D42
	v_mul_f32_e64 v7, -v67, s6                                 // 00000000420C: D1050007 20000D43
	v_exp_f32_e32 v4, v4                                       // 000000004214: 7E084104
	v_exp_f32_e32 v5, v5                                       // 000000004218: 7E0A4105
	v_exp_f32_e32 v6, v6                                       // 00000000421C: 7E0C4106
	v_exp_f32_e32 v7, v7                                       // 000000004220: 7E0E4107
	v_add_f32_e64 v4, v4, 1.0                                  // 000000004224: D1010004 0001E504
	v_add_f32_e64 v5, v5, 1.0                                  // 00000000422C: D1010005 0001E505
	v_add_f32_e64 v6, v6, 1.0                                  // 000000004234: D1010006 0001E506
	v_add_f32_e64 v7, v7, 1.0                                  // 00000000423C: D1010007 0001E507
	v_rcp_f32_e32 v4, v4                                       // 000000004244: 7E084504
	v_rcp_f32_e32 v5, v5                                       // 000000004248: 7E0A4505
	v_rcp_f32_e32 v6, v6                                       // 00000000424C: 7E0C4506
	v_rcp_f32_e32 v7, v7                                       // 000000004250: 7E0E4507
	v_mul_f32_e32 v64, v64, v4                                 // 000000004254: 0A800940
	v_mul_f32_e32 v65, v65, v5                                 // 000000004258: 0A820B41
	v_mul_f32_e32 v66, v66, v6                                 // 00000000425C: 0A840D42
	v_mul_f32_e32 v67, v67, v7                                 // 000000004260: 0A860F43
	v_mul_f32_e32 v64, v64, v88                                // 000000004264: 0A80B140
	v_mul_f32_e32 v65, v65, v89                                // 000000004268: 0A82B341
	v_mul_f32_e32 v66, v66, v90                                // 00000000426C: 0A84B542
	v_mul_f32_e32 v67, v67, v91                                // 000000004270: 0A86B743
	v_mul_f32_e64 v4, -v68, s6                                 // 000000004274: D1050004 20000D44
	v_mul_f32_e64 v5, -v69, s6                                 // 00000000427C: D1050005 20000D45
	v_mul_f32_e64 v6, -v70, s6                                 // 000000004284: D1050006 20000D46
	v_mul_f32_e64 v7, -v71, s6                                 // 00000000428C: D1050007 20000D47
	v_exp_f32_e32 v4, v4                                       // 000000004294: 7E084104
	v_exp_f32_e32 v5, v5                                       // 000000004298: 7E0A4105
	v_exp_f32_e32 v6, v6                                       // 00000000429C: 7E0C4106
	v_exp_f32_e32 v7, v7                                       // 0000000042A0: 7E0E4107
	v_add_f32_e64 v4, v4, 1.0                                  // 0000000042A4: D1010004 0001E504
	v_add_f32_e64 v5, v5, 1.0                                  // 0000000042AC: D1010005 0001E505
	v_add_f32_e64 v6, v6, 1.0                                  // 0000000042B4: D1010006 0001E506
	v_add_f32_e64 v7, v7, 1.0                                  // 0000000042BC: D1010007 0001E507
	v_rcp_f32_e32 v4, v4                                       // 0000000042C4: 7E084504
	v_rcp_f32_e32 v5, v5                                       // 0000000042C8: 7E0A4505
	v_rcp_f32_e32 v6, v6                                       // 0000000042CC: 7E0C4506
	v_rcp_f32_e32 v7, v7                                       // 0000000042D0: 7E0E4507
	v_mul_f32_e32 v68, v68, v4                                 // 0000000042D4: 0A880944
	v_mul_f32_e32 v69, v69, v5                                 // 0000000042D8: 0A8A0B45
	v_mul_f32_e32 v70, v70, v6                                 // 0000000042DC: 0A8C0D46
	v_mul_f32_e32 v71, v71, v7                                 // 0000000042E0: 0A8E0F47
	v_mul_f32_e32 v68, v68, v92                                // 0000000042E4: 0A88B944
	v_mul_f32_e32 v69, v69, v93                                // 0000000042E8: 0A8ABB45
	v_mul_f32_e32 v70, v70, v94                                // 0000000042EC: 0A8CBD46
	v_mul_f32_e32 v71, v71, v95                                // 0000000042F0: 0A8EBF47

00000000000042f4 <label_063D>:
	s_cmp_eq_u32 s7, 0                                         // 0000000042F4: BF068007
	s_cbranch_scc0 label_064A                                  // 0000000042F8: BF84000B
	v_and_b32_e32 v4, 15, v0                                   // 0000000042FC: 2608008F
	v_lshlrev_b32_e32 v4, 2, v4                                // 000000004300: 24080882
	buffer_load_dword v28, v4, s[12:15], 0 offen               // 000000004304: E0501000 80031C04
	v_add_u32_e32 v4, 64, v4                                   // 00000000430C: 680808C0
	buffer_load_dword v29, v4, s[12:15], 0 offen               // 000000004310: E0501000 80031D04
	v_add_u32_e32 v4, 64, v4                                   // 000000004318: 680808C0
	buffer_load_dword v30, v4, s[12:15], 0 offen               // 00000000431C: E0501000 80031E04
	v_add_u32_e32 v4, 64, v4                                   // 000000004324: 680808C0

0000000000004328 <label_064A>:
	v_lshlrev_b32_e32 v4, 2, v0                                // 000000004328: 24080082
	s_mul_i32 s60, 0x100, s7                                   // 00000000432C: 923C07FF 00000100
	v_add_u32_e32 v75, s60, v4                                 // 000000004334: 6896083C
	v_and_b32_e32 v4, 15, v0                                   // 000000004338: 2608008F
	v_lshlrev_b32_e32 v76, 2, v4                               // 00000000433C: 24980882
	s_waitcnt lgkmcnt(0)                                       // 000000004340: BF8CC07F
	s_barrier                                                  // 000000004344: BF8A0000
	v_mov_b32_e32 v72, 0x358637bd                              // 000000004348: 7E9002FF 358637BD
	v_max3_f32 v72, |v48|, |v49|, v72                          // 000000004350: D1D30348 05226330
	v_max3_f32 v72, |v50|, |v51|, v72                          // 000000004358: D1D30348 05226732
	v_max3_f32 v72, |v60|, |v61|, v72                          // 000000004360: D1D30348 05227B3C
	v_max3_f32 v72, |v62|, |v63|, v72                          // 000000004368: D1D30348 05227F3E
	ds_write_b32 v75, v72                                      // 000000004370: D81A0000 0000484B
	s_waitcnt lgkmcnt(0)                                       // 000000004378: BF8CC07F
	s_barrier                                                  // 00000000437C: BF8A0000
	ds_read_b32 v4, v76                                        // 000000004380: D86C0000 0400004C
	ds_read_b32 v5, v76 offset:64                              // 000000004388: D86C0040 0500004C
	ds_read_b32 v6, v76 offset:128                             // 000000004390: D86C0080 0600004C
	ds_read_b32 v7, v76 offset:192                             // 000000004398: D86C00C0 0700004C
	ds_read_b32 v8, v76 offset:256                             // 0000000043A0: D86C0100 0800004C
	ds_read_b32 v9, v76 offset:320                             // 0000000043A8: D86C0140 0900004C
	ds_read_b32 v10, v76 offset:384                            // 0000000043B0: D86C0180 0A00004C
	ds_read_b32 v11, v76 offset:448                            // 0000000043B8: D86C01C0 0B00004C
	ds_read_b32 v12, v76 offset:512                            // 0000000043C0: D86C0200 0C00004C
	ds_read_b32 v13, v76 offset:576                            // 0000000043C8: D86C0240 0D00004C
	ds_read_b32 v14, v76 offset:640                            // 0000000043D0: D86C0280 0E00004C
	ds_read_b32 v15, v76 offset:704                            // 0000000043D8: D86C02C0 0F00004C
	ds_read_b32 v16, v76 offset:768                            // 0000000043E0: D86C0300 1000004C
	ds_read_b32 v17, v76 offset:832                            // 0000000043E8: D86C0340 1100004C
	ds_read_b32 v18, v76 offset:896                            // 0000000043F0: D86C0380 1200004C
	ds_read_b32 v19, v76 offset:960                            // 0000000043F8: D86C03C0 1300004C
	s_waitcnt lgkmcnt(0)                                       // 000000004400: BF8CC07F
	s_barrier                                                  // 000000004404: BF8A0000
	v_max3_f32 v72, |v4|, |v5|, v72                            // 000000004408: D1D30348 05220B04
	v_max3_f32 v72, |v6|, |v7|, v72                            // 000000004410: D1D30348 05220F06
	v_max3_f32 v72, |v8|, |v9|, v72                            // 000000004418: D1D30348 05221308
	v_max3_f32 v72, |v10|, |v11|, v72                          // 000000004420: D1D30348 0522170A
	v_max3_f32 v72, |v12|, |v13|, v72                          // 000000004428: D1D30348 05221B0C
	v_max3_f32 v72, |v14|, |v15|, v72                          // 000000004430: D1D30348 05221F0E
	v_max3_f32 v72, |v16|, |v17|, v72                          // 000000004438: D1D30348 05222310
	v_max3_f32 v72, |v18|, |v19|, v72                          // 000000004440: D1D30348 05222712
	v_rcp_f32_e32 v72, v72                                     // 000000004448: 7E904548
	v_mov_b32_e32 v4, 0x43700000                               // 00000000444C: 7E0802FF 43700000
	v_mul_f32_e32 v72, v4, v72                                 // 000000004454: 0A909104
	v_mov_b32_e32 v4, v72                                      // 000000004458: 7E080348
	v_mov_b32_e32 v5, v4                                       // 00000000445C: 7E0A0304
	v_pk_mul_f32 v[48:49], v[4:5], v[48:49]                    // 000000004460: D3B14030 18026104
	v_pk_mul_f32 v[50:51], v[4:5], v[50:51]                    // 000000004468: D3B14032 18026504
	v_cvt_pk_fp8_f32 v48, v48, v49                             // 000000004470: D2A20030 00026330
	v_cvt_pk_fp8_f32 v48, v50, v51 op_sel:[0,0,1]              // 000000004478: D2A24030 00026732
	v_pk_mul_f32 v[60:61], v[4:5], v[60:61]                    // 000000004480: D3B1403C 18027904
	v_pk_mul_f32 v[62:63], v[4:5], v[62:63]                    // 000000004488: D3B1403E 18027D04
	v_cvt_pk_fp8_f32 v60, v60, v61                             // 000000004490: D2A2003C 00027B3C
	v_cvt_pk_fp8_f32 v60, v62, v63 op_sel:[0,0,1]              // 000000004498: D2A2403C 00027F3E
	v_rcp_f32_e32 v72, v72                                     // 0000000044A0: 7E904548
	v_mov_b32_e32 v73, 0x358637bd                              // 0000000044A4: 7E9202FF 358637BD
	v_max3_f32 v73, |v52|, |v53|, v73                          // 0000000044AC: D1D30349 05266B34
	v_max3_f32 v73, |v54|, |v55|, v73                          // 0000000044B4: D1D30349 05266F36
	v_max3_f32 v73, |v64|, |v65|, v73                          // 0000000044BC: D1D30349 05268340
	v_max3_f32 v73, |v66|, |v67|, v73                          // 0000000044C4: D1D30349 05268742
	ds_write_b32 v75, v73                                      // 0000000044CC: D81A0000 0000494B
	s_waitcnt lgkmcnt(0)                                       // 0000000044D4: BF8CC07F
	s_barrier                                                  // 0000000044D8: BF8A0000
	ds_read_b32 v4, v76                                        // 0000000044DC: D86C0000 0400004C
	ds_read_b32 v5, v76 offset:64                              // 0000000044E4: D86C0040 0500004C
	ds_read_b32 v6, v76 offset:128                             // 0000000044EC: D86C0080 0600004C
	ds_read_b32 v7, v76 offset:192                             // 0000000044F4: D86C00C0 0700004C
	ds_read_b32 v8, v76 offset:256                             // 0000000044FC: D86C0100 0800004C
	ds_read_b32 v9, v76 offset:320                             // 000000004504: D86C0140 0900004C
	ds_read_b32 v10, v76 offset:384                            // 00000000450C: D86C0180 0A00004C
	ds_read_b32 v11, v76 offset:448                            // 000000004514: D86C01C0 0B00004C
	ds_read_b32 v12, v76 offset:512                            // 00000000451C: D86C0200 0C00004C
	ds_read_b32 v13, v76 offset:576                            // 000000004524: D86C0240 0D00004C
	ds_read_b32 v14, v76 offset:640                            // 00000000452C: D86C0280 0E00004C
	ds_read_b32 v15, v76 offset:704                            // 000000004534: D86C02C0 0F00004C
	ds_read_b32 v16, v76 offset:768                            // 00000000453C: D86C0300 1000004C
	ds_read_b32 v17, v76 offset:832                            // 000000004544: D86C0340 1100004C
	ds_read_b32 v18, v76 offset:896                            // 00000000454C: D86C0380 1200004C
	ds_read_b32 v19, v76 offset:960                            // 000000004554: D86C03C0 1300004C
	s_waitcnt lgkmcnt(0)                                       // 00000000455C: BF8CC07F
	s_barrier                                                  // 000000004560: BF8A0000
	v_max3_f32 v73, |v4|, |v5|, v73                            // 000000004564: D1D30349 05260B04
	v_max3_f32 v73, |v6|, |v7|, v73                            // 00000000456C: D1D30349 05260F06
	v_max3_f32 v73, |v8|, |v9|, v73                            // 000000004574: D1D30349 05261308
	v_max3_f32 v73, |v10|, |v11|, v73                          // 00000000457C: D1D30349 0526170A
	v_max3_f32 v73, |v12|, |v13|, v73                          // 000000004584: D1D30349 05261B0C
	v_max3_f32 v73, |v14|, |v15|, v73                          // 00000000458C: D1D30349 05261F0E
	v_max3_f32 v73, |v16|, |v17|, v73                          // 000000004594: D1D30349 05262310
	v_max3_f32 v73, |v18|, |v19|, v73                          // 00000000459C: D1D30349 05262712
	v_rcp_f32_e32 v73, v73                                     // 0000000045A4: 7E924549
	v_mov_b32_e32 v4, 0x43700000                               // 0000000045A8: 7E0802FF 43700000
	v_mul_f32_e32 v73, v4, v73                                 // 0000000045B0: 0A929304
	v_mov_b32_e32 v4, v73                                      // 0000000045B4: 7E080349
	v_mov_b32_e32 v5, v4                                       // 0000000045B8: 7E0A0304
	v_pk_mul_f32 v[52:53], v[4:5], v[52:53]                    // 0000000045BC: D3B14034 18026904
	v_pk_mul_f32 v[54:55], v[4:5], v[54:55]                    // 0000000045C4: D3B14036 18026D04
	v_cvt_pk_fp8_f32 v52, v52, v53                             // 0000000045CC: D2A20034 00026B34
	v_cvt_pk_fp8_f32 v52, v54, v55 op_sel:[0,0,1]              // 0000000045D4: D2A24034 00026F36
	v_pk_mul_f32 v[64:65], v[4:5], v[64:65]                    // 0000000045DC: D3B14040 18028104
	v_pk_mul_f32 v[66:67], v[4:5], v[66:67]                    // 0000000045E4: D3B14042 18028504
	v_cvt_pk_fp8_f32 v64, v64, v65                             // 0000000045EC: D2A20040 00028340
	v_cvt_pk_fp8_f32 v64, v66, v67 op_sel:[0,0,1]              // 0000000045F4: D2A24040 00028742
	v_rcp_f32_e32 v73, v73                                     // 0000000045FC: 7E924549
	v_mov_b32_e32 v74, 0x358637bd                              // 000000004600: 7E9402FF 358637BD
	v_max3_f32 v74, |v56|, |v57|, v74                          // 000000004608: D1D3034A 052A7338
	v_max3_f32 v74, |v58|, |v59|, v74                          // 000000004610: D1D3034A 052A773A
	v_max3_f32 v74, |v68|, |v69|, v74                          // 000000004618: D1D3034A 052A8B44
	v_max3_f32 v74, |v70|, |v71|, v74                          // 000000004620: D1D3034A 052A8F46
	ds_write_b32 v75, v74                                      // 000000004628: D81A0000 00004A4B
	s_waitcnt lgkmcnt(0)                                       // 000000004630: BF8CC07F
	s_barrier                                                  // 000000004634: BF8A0000
	ds_read_b32 v4, v76                                        // 000000004638: D86C0000 0400004C
	ds_read_b32 v5, v76 offset:64                              // 000000004640: D86C0040 0500004C
	ds_read_b32 v6, v76 offset:128                             // 000000004648: D86C0080 0600004C
	ds_read_b32 v7, v76 offset:192                             // 000000004650: D86C00C0 0700004C
	ds_read_b32 v8, v76 offset:256                             // 000000004658: D86C0100 0800004C
	ds_read_b32 v9, v76 offset:320                             // 000000004660: D86C0140 0900004C
	ds_read_b32 v10, v76 offset:384                            // 000000004668: D86C0180 0A00004C
	ds_read_b32 v11, v76 offset:448                            // 000000004670: D86C01C0 0B00004C
	ds_read_b32 v12, v76 offset:512                            // 000000004678: D86C0200 0C00004C
	ds_read_b32 v13, v76 offset:576                            // 000000004680: D86C0240 0D00004C
	ds_read_b32 v14, v76 offset:640                            // 000000004688: D86C0280 0E00004C
	ds_read_b32 v15, v76 offset:704                            // 000000004690: D86C02C0 0F00004C
	ds_read_b32 v16, v76 offset:768                            // 000000004698: D86C0300 1000004C
	ds_read_b32 v17, v76 offset:832                            // 0000000046A0: D86C0340 1100004C
	ds_read_b32 v18, v76 offset:896                            // 0000000046A8: D86C0380 1200004C
	ds_read_b32 v19, v76 offset:960                            // 0000000046B0: D86C03C0 1300004C
	s_waitcnt lgkmcnt(0)                                       // 0000000046B8: BF8CC07F
	s_barrier                                                  // 0000000046BC: BF8A0000
	v_max3_f32 v74, |v4|, |v5|, v74                            // 0000000046C0: D1D3034A 052A0B04
	v_max3_f32 v74, |v6|, |v7|, v74                            // 0000000046C8: D1D3034A 052A0F06
	v_max3_f32 v74, |v8|, |v9|, v74                            // 0000000046D0: D1D3034A 052A1308
	v_max3_f32 v74, |v10|, |v11|, v74                          // 0000000046D8: D1D3034A 052A170A
	v_max3_f32 v74, |v12|, |v13|, v74                          // 0000000046E0: D1D3034A 052A1B0C
	v_max3_f32 v74, |v14|, |v15|, v74                          // 0000000046E8: D1D3034A 052A1F0E
	v_max3_f32 v74, |v16|, |v17|, v74                          // 0000000046F0: D1D3034A 052A2310
	v_max3_f32 v74, |v18|, |v19|, v74                          // 0000000046F8: D1D3034A 052A2712
	v_rcp_f32_e32 v74, v74                                     // 000000004700: 7E94454A
	v_mov_b32_e32 v4, 0x43700000                               // 000000004704: 7E0802FF 43700000
	v_mul_f32_e32 v74, v4, v74                                 // 00000000470C: 0A949504
	v_mov_b32_e32 v4, v74                                      // 000000004710: 7E08034A
	v_mov_b32_e32 v5, v4                                       // 000000004714: 7E0A0304
	v_pk_mul_f32 v[56:57], v[4:5], v[56:57]                    // 000000004718: D3B14038 18027104
	v_pk_mul_f32 v[58:59], v[4:5], v[58:59]                    // 000000004720: D3B1403A 18027504
	v_cvt_pk_fp8_f32 v56, v56, v57                             // 000000004728: D2A20038 00027338
	v_cvt_pk_fp8_f32 v56, v58, v59 op_sel:[0,0,1]              // 000000004730: D2A24038 0002773A
	v_pk_mul_f32 v[68:69], v[4:5], v[68:69]                    // 000000004738: D3B14044 18028904
	v_pk_mul_f32 v[70:71], v[4:5], v[70:71]                    // 000000004740: D3B14046 18028D04
	v_cvt_pk_fp8_f32 v68, v68, v69                             // 000000004748: D2A20044 00028B44
	v_cvt_pk_fp8_f32 v68, v70, v71 op_sel:[0,0,1]              // 000000004750: D2A24044 00028F46
	v_rcp_f32_e32 v74, v74                                     // 000000004758: 7E94454A
	v_lshrrev_b32_e32 v4, 5, v0                                // 00000000475C: 20080085
	v_mul_lo_u32 v20, 34, v4                                   // 000000004760: D2850014 000208A2
	v_and_b32_e32 v4, 31, v0                                   // 000000004768: 2608009F
	v_lshrrev_b32_e32 v5, 4, v4                                // 00000000476C: 200A0884
	v_add_u32_e32 v20, v5, v20                                 // 000000004770: 68282905
	v_and_b32_e32 v4, 15, v0                                   // 000000004774: 2608008F
	v_mul_lo_u32 v5, 2, v4                                     // 000000004778: D2850005 00020882
	v_add_u32_e32 v20, v5, v20                                 // 000000004780: 68282905
	s_mul_i32 s60, s7, 0x44                                    // 000000004784: 923CFF07 00000044
	v_add_u32_e32 v20, s60, v20                                // 00000000478C: 6828283C
	v_lshlrev_b32_e32 v20, 2, v20                              // 000000004790: 24282882
	ds_write_b32 v20, v48                                      // 000000004794: D81A0000 00003014
	ds_write_b32 v20, v52 offset:2176                          // 00000000479C: D81A0880 00003414
	ds_write_b32 v20, v56 offset:4352                          // 0000000047A4: D81A1100 00003814
	ds_write_b32 v20, v60 offset:1088                          // 0000000047AC: D81A0440 00003C14
	ds_write_b32 v20, v64 offset:3264                          // 0000000047B4: D81A0CC0 00004014
	ds_write_b32 v20, v68 offset:5440                          // 0000000047BC: D81A1540 00004414
	v_lshrrev_b32_e32 v4, 5, v0                                // 0000000047C4: 20080085
	v_xor_b32_e32 v5, 1, v4                                    // 0000000047C8: 2A0A0881
	s_mul_i32 s60, s65, 1                                      // 0000000047CC: 923C8141
	s_cmp_eq_u32 s88, 0                                        // 0000000047D0: BF068058
	s_cselect_b32 s61, 1, 8                                    // 0000000047D4: 853D8881
	s_mul_i32 s60, s61, s60                                    // 0000000047D8: 923C3C3D
	v_readlane_b32 s82, v3, 0                                  // 0000000047DC: D2890052 00010103
	s_lshr_b32 s61, s82, 24                                    // 0000000047E4: 8F3D9852
	s_and_b32 s82, s82, 0xffffff                               // 0000000047E8: 8652FF52 00FFFFFF
	s_mul_i32 s82, s82, s71                                    // 0000000047F0: 92524752
	s_mul_i32 s61, s60, s61                                    // 0000000047F4: 923D3D3C
	s_add_u32 s82, s82, s61                                    // 0000000047F8: 80523D52
	v_mul_lo_u32 v6, v5, s82                                   // 0000000047FC: D2850006 0000A505
	v_readlane_b32 s82, v3, 1                                  // 000000004804: D2890052 00010303
	s_lshr_b32 s61, s82, 24                                    // 00000000480C: 8F3D9852
	s_and_b32 s82, s82, 0xffffff                               // 000000004810: 8652FF52 00FFFFFF
	s_mul_i32 s82, s82, s71                                    // 000000004818: 92524752
	s_mul_i32 s61, s60, s61                                    // 00000000481C: 923D3D3C
	s_add_u32 s82, s82, s61                                    // 000000004820: 80523D52
	v_mul_lo_u32 v7, v4, s82                                   // 000000004824: D2850007 0000A504
	v_add_u32_e32 v40, v6, v7                                  // 00000000482C: 68500F06
	v_readlane_b32 s82, v3, 2                                  // 000000004830: D2890052 00010503
	s_lshr_b32 s61, s82, 24                                    // 000000004838: 8F3D9852
	s_and_b32 s82, s82, 0xffffff                               // 00000000483C: 8652FF52 00FFFFFF
	s_mul_i32 s82, s82, s71                                    // 000000004844: 92524752
	s_mul_i32 s61, s60, s61                                    // 000000004848: 923D3D3C
	s_add_u32 s82, s82, s61                                    // 00000000484C: 80523D52
	v_mul_lo_u32 v6, v5, s82                                   // 000000004850: D2850006 0000A505
	v_readlane_b32 s82, v3, 3                                  // 000000004858: D2890052 00010703
	s_lshr_b32 s61, s82, 24                                    // 000000004860: 8F3D9852
	s_and_b32 s82, s82, 0xffffff                               // 000000004864: 8652FF52 00FFFFFF
	s_mul_i32 s82, s82, s71                                    // 00000000486C: 92524752
	s_mul_i32 s61, s60, s61                                    // 000000004870: 923D3D3C
	s_add_u32 s82, s82, s61                                    // 000000004874: 80523D52
	v_mul_lo_u32 v7, v4, s82                                   // 000000004878: D2850007 0000A504
	v_add_u32_e32 v41, v6, v7                                  // 000000004880: 68520F06
	v_readlane_b32 s82, v3, 4                                  // 000000004884: D2890052 00010903
	s_lshr_b32 s61, s82, 24                                    // 00000000488C: 8F3D9852
	s_and_b32 s82, s82, 0xffffff                               // 000000004890: 8652FF52 00FFFFFF
	s_mul_i32 s82, s82, s71                                    // 000000004898: 92524752
	s_mul_i32 s61, s60, s61                                    // 00000000489C: 923D3D3C
	s_add_u32 s82, s82, s61                                    // 0000000048A0: 80523D52
	v_mul_lo_u32 v6, v5, s82                                   // 0000000048A4: D2850006 0000A505
	v_readlane_b32 s82, v3, 5                                  // 0000000048AC: D2890052 00010B03
	s_lshr_b32 s61, s82, 24                                    // 0000000048B4: 8F3D9852
	s_and_b32 s82, s82, 0xffffff                               // 0000000048B8: 8652FF52 00FFFFFF
	s_mul_i32 s82, s82, s71                                    // 0000000048C0: 92524752
	s_mul_i32 s61, s60, s61                                    // 0000000048C4: 923D3D3C
	s_add_u32 s82, s82, s61                                    // 0000000048C8: 80523D52
	v_mul_lo_u32 v7, v4, s82                                   // 0000000048CC: D2850007 0000A504
	v_add_u32_e32 v42, v6, v7                                  // 0000000048D4: 68540F06
	v_readlane_b32 s82, v3, 6                                  // 0000000048D8: D2890052 00010D03
	s_lshr_b32 s61, s82, 24                                    // 0000000048E0: 8F3D9852
	s_and_b32 s82, s82, 0xffffff                               // 0000000048E4: 8652FF52 00FFFFFF
	s_mul_i32 s82, s82, s71                                    // 0000000048EC: 92524752
	s_mul_i32 s61, s60, s61                                    // 0000000048F0: 923D3D3C
	s_add_u32 s82, s82, s61                                    // 0000000048F4: 80523D52
	v_mul_lo_u32 v6, v5, s82                                   // 0000000048F8: D2850006 0000A505
	v_readlane_b32 s82, v3, 7                                  // 000000004900: D2890052 00010F03
	s_lshr_b32 s61, s82, 24                                    // 000000004908: 8F3D9852
	s_and_b32 s82, s82, 0xffffff                               // 00000000490C: 8652FF52 00FFFFFF
	s_mul_i32 s82, s82, s71                                    // 000000004914: 92524752
	s_mul_i32 s61, s60, s61                                    // 000000004918: 923D3D3C
	s_add_u32 s82, s82, s61                                    // 00000000491C: 80523D52
	v_mul_lo_u32 v7, v4, s82                                   // 000000004920: D2850007 0000A504
	v_add_u32_e32 v43, v6, v7                                  // 000000004928: 68560F06
	v_readlane_b32 s82, v3, 8                                  // 00000000492C: D2890052 00011103
	s_lshr_b32 s61, s82, 24                                    // 000000004934: 8F3D9852
	s_and_b32 s82, s82, 0xffffff                               // 000000004938: 8652FF52 00FFFFFF
	s_mul_i32 s82, s82, s71                                    // 000000004940: 92524752
	s_mul_i32 s61, s60, s61                                    // 000000004944: 923D3D3C
	s_add_u32 s82, s82, s61                                    // 000000004948: 80523D52
	v_mul_lo_u32 v6, v5, s82                                   // 00000000494C: D2850006 0000A505
	v_readlane_b32 s82, v3, 9                                  // 000000004954: D2890052 00011303
	s_lshr_b32 s61, s82, 24                                    // 00000000495C: 8F3D9852
	s_and_b32 s82, s82, 0xffffff                               // 000000004960: 8652FF52 00FFFFFF
	s_mul_i32 s82, s82, s71                                    // 000000004968: 92524752
	s_mul_i32 s61, s60, s61                                    // 00000000496C: 923D3D3C
	s_add_u32 s82, s82, s61                                    // 000000004970: 80523D52
	v_mul_lo_u32 v7, v4, s82                                   // 000000004974: D2850007 0000A504
	v_add_u32_e32 v44, v6, v7                                  // 00000000497C: 68580F06
	v_readlane_b32 s82, v3, 10                                 // 000000004980: D2890052 00011503
	s_lshr_b32 s61, s82, 24                                    // 000000004988: 8F3D9852
	s_and_b32 s82, s82, 0xffffff                               // 00000000498C: 8652FF52 00FFFFFF
	s_mul_i32 s82, s82, s71                                    // 000000004994: 92524752
	s_mul_i32 s61, s60, s61                                    // 000000004998: 923D3D3C
	s_add_u32 s82, s82, s61                                    // 00000000499C: 80523D52
	v_mul_lo_u32 v6, v5, s82                                   // 0000000049A0: D2850006 0000A505
	v_readlane_b32 s82, v3, 11                                 // 0000000049A8: D2890052 00011703
	s_lshr_b32 s61, s82, 24                                    // 0000000049B0: 8F3D9852
	s_and_b32 s82, s82, 0xffffff                               // 0000000049B4: 8652FF52 00FFFFFF
	s_mul_i32 s82, s82, s71                                    // 0000000049BC: 92524752
	s_mul_i32 s61, s60, s61                                    // 0000000049C0: 923D3D3C
	s_add_u32 s82, s82, s61                                    // 0000000049C4: 80523D52
	v_mul_lo_u32 v7, v4, s82                                   // 0000000049C8: D2850007 0000A504
	v_add_u32_e32 v45, v6, v7                                  // 0000000049D0: 685A0F06
	v_and_b32_e32 v4, 31, v0                                   // 0000000049D4: 2608009F
	v_lshrrev_b32_e32 v4, 1, v4                                // 0000000049D8: 20080881
	s_cmp_eq_u32 s88, 0                                        // 0000000049DC: BF068058
	s_cselect_b32 s61, 2, 4                                    // 0000000049E0: 853D8482
	v_mul_lo_u32 v4, v4, s61                                   // 0000000049E4: D2850004 00007B04
	v_and_b32_e64 v5, v0, 1                                    // 0000000049EC: D1130005 00010300
	v_add_u32_e32 v4, v4, v5                                   // 0000000049F4: 68080B04
	v_lshlrev_b32_e32 v4, 2, v4                                // 0000000049F8: 24080882
	v_add_u32_e32 v40, v40, v4                                 // 0000000049FC: 68500928
	v_add_u32_e32 v41, v41, v4                                 // 000000004A00: 68520929
	v_add_u32_e32 v42, v42, v4                                 // 000000004A04: 6854092A
	v_add_u32_e32 v43, v43, v4                                 // 000000004A08: 6856092B
	v_add_u32_e32 v44, v44, v4                                 // 000000004A0C: 6858092C
	v_add_u32_e32 v45, v45, v4                                 // 000000004A10: 685A092D
	s_waitcnt lgkmcnt(0)                                       // 000000004A14: BF8CC07F
	s_barrier                                                  // 000000004A18: BF8A0000
	ds_read_b32 v48, v21                                       // 000000004A1C: D86C0000 30000015
	ds_read_b32 v49, v21 offset:64                             // 000000004A24: D86C0040 31000015
	ds_read_b32 v50, v21 offset:2176                           // 000000004A2C: D86C0880 32000015
	ds_read_b32 v51, v21 offset:2240                           // 000000004A34: D86C08C0 33000015
	ds_read_b32 v52, v21 offset:4352                           // 000000004A3C: D86C1100 34000015
	ds_read_b32 v53, v21 offset:4416                           // 000000004A44: D86C1140 35000015
	s_waitcnt lgkmcnt(0)                                       // 000000004A4C: BF8CC07F
	s_mov_b32 s36, -1                                          // 000000004A50: BEA400C1
	s_mov_b32 s37, -1                                          // 000000004A54: BEA500C1
	v_mov_b32_e32 v7, 0                                        // 000000004A58: 7E0E0280
	s_or_b32 s9, s9, 0x40000                                   // 000000004A5C: 8709FF09 00040000
	s_mov_b64 exec, s[36:37]                                   // 000000004A64: BEFE0124
	v_mov_b32_e32 v6, v40                                      // 000000004A68: 7E0C0328
	s_mov_b64 s[60:61], 0                                      // 000000004A6C: BEBC0180
	v_readlane_b32 s82, v3, 0                                  // 000000004A70: D2890052 00010103
	s_and_b32 s82, s82, 0xffffff                               // 000000004A78: 8652FF52 00FFFFFF
	s_cmp_lt_u32 s82, s66                                      // 000000004A80: BF0A4252
	s_cselect_b32 s20, s36, s60                                // 000000004A84: 85143C24
	v_readlane_b32 s82, v3, 1                                  // 000000004A88: D2890052 00010303
	s_and_b32 s82, s82, 0xffffff                               // 000000004A90: 8652FF52 00FFFFFF
	s_cmp_lt_u32 s82, s66                                      // 000000004A98: BF0A4252
	s_cselect_b32 s21, s36, s60                                // 000000004A9C: 85153C24
	s_mov_b64 exec, s[20:21]                                   // 000000004AA0: BEFE0114
	buffer_store_dword v48, v6, s[8:11], 0 offen               // 000000004AA4: E0701000 80023006
	s_mov_b64 exec, s[36:37]                                   // 000000004AAC: BEFE0124
	v_mov_b32_e32 v6, v41                                      // 000000004AB0: 7E0C0329
	s_mov_b64 s[60:61], 0                                      // 000000004AB4: BEBC0180
	v_readlane_b32 s82, v3, 2                                  // 000000004AB8: D2890052 00010503
	s_and_b32 s82, s82, 0xffffff                               // 000000004AC0: 8652FF52 00FFFFFF
	s_cmp_lt_u32 s82, s66                                      // 000000004AC8: BF0A4252
	s_cselect_b32 s20, s36, s60                                // 000000004ACC: 85143C24
	v_readlane_b32 s82, v3, 3                                  // 000000004AD0: D2890052 00010703
	s_and_b32 s82, s82, 0xffffff                               // 000000004AD8: 8652FF52 00FFFFFF
	s_cmp_lt_u32 s82, s66                                      // 000000004AE0: BF0A4252
	s_cselect_b32 s21, s36, s60                                // 000000004AE4: 85153C24
	s_mov_b64 exec, s[20:21]                                   // 000000004AE8: BEFE0114
	buffer_store_dword v49, v6, s[8:11], 0 offen               // 000000004AEC: E0701000 80023106
	s_mov_b64 exec, s[36:37]                                   // 000000004AF4: BEFE0124
	v_mov_b32_e32 v6, v42                                      // 000000004AF8: 7E0C032A
	s_mov_b64 s[60:61], 0                                      // 000000004AFC: BEBC0180
	v_readlane_b32 s82, v3, 4                                  // 000000004B00: D2890052 00010903
	s_and_b32 s82, s82, 0xffffff                               // 000000004B08: 8652FF52 00FFFFFF
	s_cmp_lt_u32 s82, s66                                      // 000000004B10: BF0A4252
	s_cselect_b32 s20, s36, s60                                // 000000004B14: 85143C24
	v_readlane_b32 s82, v3, 5                                  // 000000004B18: D2890052 00010B03
	s_and_b32 s82, s82, 0xffffff                               // 000000004B20: 8652FF52 00FFFFFF
	s_cmp_lt_u32 s82, s66                                      // 000000004B28: BF0A4252
	s_cselect_b32 s21, s36, s60                                // 000000004B2C: 85153C24
	s_mov_b64 exec, s[20:21]                                   // 000000004B30: BEFE0114
	buffer_store_dword v50, v6, s[8:11], 0 offen               // 000000004B34: E0701000 80023206
	s_mov_b64 exec, s[36:37]                                   // 000000004B3C: BEFE0124
	v_mov_b32_e32 v6, v43                                      // 000000004B40: 7E0C032B
	s_mov_b64 s[60:61], 0                                      // 000000004B44: BEBC0180
	v_readlane_b32 s82, v3, 6                                  // 000000004B48: D2890052 00010D03
	s_and_b32 s82, s82, 0xffffff                               // 000000004B50: 8652FF52 00FFFFFF
	s_cmp_lt_u32 s82, s66                                      // 000000004B58: BF0A4252
	s_cselect_b32 s20, s36, s60                                // 000000004B5C: 85143C24
	v_readlane_b32 s82, v3, 7                                  // 000000004B60: D2890052 00010F03
	s_and_b32 s82, s82, 0xffffff                               // 000000004B68: 8652FF52 00FFFFFF
	s_cmp_lt_u32 s82, s66                                      // 000000004B70: BF0A4252
	s_cselect_b32 s21, s36, s60                                // 000000004B74: 85153C24
	s_mov_b64 exec, s[20:21]                                   // 000000004B78: BEFE0114
	buffer_store_dword v51, v6, s[8:11], 0 offen               // 000000004B7C: E0701000 80023306
	s_mov_b64 exec, s[36:37]                                   // 000000004B84: BEFE0124
	v_mov_b32_e32 v6, v44                                      // 000000004B88: 7E0C032C
	s_mov_b64 s[60:61], 0                                      // 000000004B8C: BEBC0180
	v_readlane_b32 s82, v3, 8                                  // 000000004B90: D2890052 00011103
	s_and_b32 s82, s82, 0xffffff                               // 000000004B98: 8652FF52 00FFFFFF
	s_cmp_lt_u32 s82, s66                                      // 000000004BA0: BF0A4252
	s_cselect_b32 s20, s36, s60                                // 000000004BA4: 85143C24
	v_readlane_b32 s82, v3, 9                                  // 000000004BA8: D2890052 00011303
	s_and_b32 s82, s82, 0xffffff                               // 000000004BB0: 8652FF52 00FFFFFF
	s_cmp_lt_u32 s82, s66                                      // 000000004BB8: BF0A4252
	s_cselect_b32 s21, s36, s60                                // 000000004BBC: 85153C24
	s_mov_b64 exec, s[20:21]                                   // 000000004BC0: BEFE0114
	buffer_store_dword v52, v6, s[8:11], 0 offen               // 000000004BC4: E0701000 80023406
	s_mov_b64 exec, s[36:37]                                   // 000000004BCC: BEFE0124
	v_mov_b32_e32 v6, v45                                      // 000000004BD0: 7E0C032D
	s_mov_b64 s[60:61], 0                                      // 000000004BD4: BEBC0180
	v_readlane_b32 s82, v3, 10                                 // 000000004BD8: D2890052 00011503
	s_and_b32 s82, s82, 0xffffff                               // 000000004BE0: 8652FF52 00FFFFFF
	s_cmp_lt_u32 s82, s66                                      // 000000004BE8: BF0A4252
	s_cselect_b32 s20, s36, s60                                // 000000004BEC: 85143C24
	v_readlane_b32 s82, v3, 11                                 // 000000004BF0: D2890052 00011703
	s_and_b32 s82, s82, 0xffffff                               // 000000004BF8: 8652FF52 00FFFFFF
	s_cmp_lt_u32 s82, s66                                      // 000000004C00: BF0A4252
	s_cselect_b32 s21, s36, s60                                // 000000004C04: 85153C24
	s_mov_b64 exec, s[20:21]                                   // 000000004C08: BEFE0114
	buffer_store_dword v53, v6, s[8:11], 0 offen               // 000000004C0C: E0701000 80023506
	s_mov_b64 exec, s[36:37]                                   // 000000004C14: BEFE0124
	s_cmp_eq_u32 s7, 0                                         // 000000004C18: BF068007
	s_cbranch_scc0 label_158E                                  // 000000004C1C: BF840D03
	s_waitcnt vmcnt(6)                                         // 000000004C20: BF8C0F76
	s_mov_b32 s8, s90                                          // 000000004C24: BE88005A
	s_mov_b32 s9, s91                                          // 000000004C28: BE89005B
	s_mul_i32 s60, s66, s71                                    // 000000004C2C: 923C4742
	s_add_u32 s8, s60, s8                                      // 000000004C30: 8008083C
	s_addc_u32 s9, 0, s9                                       // 000000004C34: 82090980
	s_lshr_b32 s71, s71, 5                                     // 000000004C38: 8F478547
	s_mul_i32 s60, s66, s71                                    // 000000004C3C: 923C4742
	s_mov_b32 s10, s60                                         // 000000004C40: BE8A003C
	s_lshr_b32 s61, s65, 5                                     // 000000004C44: 8F3D8541
	s_mul_i32 s60, s2, 4                                       // 000000004C48: 923C8402
	v_lshrrev_b32_e32 v4, 24, v28                              // 000000004C4C: 20083898
	v_mul_lo_u32 v4, s61, v4                                   // 000000004C50: D2850004 0002083D
	v_and_b32_e32 v28, 0xffffff, v28                           // 000000004C58: 263838FF 00FFFFFF
	v_mul_lo_u32 v28, s71, v28                                 // 000000004C60: D285001C 00023847
	v_add_u32_e32 v28, v4, v28                                 // 000000004C68: 68383904
	v_add_u32_e32 v28, s60, v28                                // 000000004C6C: 6838383C
	v_lshrrev_b32_e32 v4, 24, v29                              // 000000004C70: 20083A98
	v_mul_lo_u32 v4, s61, v4                                   // 000000004C74: D2850004 0002083D
	v_and_b32_e32 v29, 0xffffff, v29                           // 000000004C7C: 263A3AFF 00FFFFFF
	v_mul_lo_u32 v29, s71, v29                                 // 000000004C84: D285001D 00023A47
	v_add_u32_e32 v29, v4, v29                                 // 000000004C8C: 683A3B04
	v_add_u32_e32 v29, s60, v29                                // 000000004C90: 683A3A3C
	v_lshrrev_b32_e32 v4, 24, v30                              // 000000004C94: 20083C98
	v_mul_lo_u32 v4, s61, v4                                   // 000000004C98: D2850004 0002083D
	v_and_b32_e32 v30, 0xffffff, v30                           // 000000004CA0: 263C3CFF 00FFFFFF
	v_mul_lo_u32 v30, s71, v30                                 // 000000004CA8: D285001E 00023C47
	v_add_u32_e32 v30, v4, v30                                 // 000000004CB0: 683C3D04
	v_add_u32_e32 v30, s60, v30                                // 000000004CB4: 683C3C3C
	s_mov_b64 exec, 0xffff                                     // 000000004CB8: BEFE01FF 0000FFFF
	buffer_store_dword v72, v28, s[8:11], 0 offen              // 000000004CC0: E0701000 8002481C
	buffer_store_dword v73, v29, s[8:11], 0 offen              // 000000004CC8: E0701000 8002491D
	buffer_store_dword v74, v30, s[8:11], 0 offen              // 000000004CD0: E0701000 80024A1E
	s_mov_b64 exec, s[36:37]                                   // 000000004CD8: BEFE0124
	s_branch label_158E                                        // 000000004CDC: BF820CD3

0000000000004ce0 <label_08B8>:
	ds_write_b64 v20, v[48:49]                                 // 000000004CE0: D89A0000 00003014
	ds_write_b64 v20, v[52:53] offset:4352                     // 000000004CE8: D89A1100 00003414
	ds_write_b64 v20, v[56:57] offset:8704                     // 000000004CF0: D89A2200 00003814
	ds_write_b64 v20, v[60:61] offset:2176                     // 000000004CF8: D89A0880 00003C14
	ds_write_b64 v20, v[64:65] offset:6528                     // 000000004D00: D89A1980 00004014
	ds_write_b64 v20, v[68:69] offset:10880                    // 000000004D08: D89A2A80 00004414
	v_lshrrev_b32_e32 v4, 5, v0                                // 000000004D10: 20080085
	v_xor_b32_e32 v5, 1, v4                                    // 000000004D14: 2A0A0881
	s_mul_i32 s60, s65, 1                                      // 000000004D18: 923C8141
	s_cmp_eq_u32 s88, 0                                        // 000000004D1C: BF068058
	s_cselect_b32 s61, 1, 8                                    // 000000004D20: 853D8881
	s_mul_i32 s60, s61, s60                                    // 000000004D24: 923C3C3D
	v_readlane_b32 s82, v3, 0                                  // 000000004D28: D2890052 00010103
	s_lshr_b32 s61, s82, 24                                    // 000000004D30: 8F3D9852
	s_and_b32 s82, s82, 0xffffff                               // 000000004D34: 8652FF52 00FFFFFF
	s_mul_i32 s82, s82, s71                                    // 000000004D3C: 92524752
	s_mul_i32 s61, s60, s61                                    // 000000004D40: 923D3D3C
	s_add_u32 s82, s82, s61                                    // 000000004D44: 80523D52
	v_mul_lo_u32 v6, v5, s82                                   // 000000004D48: D2850006 0000A505
	v_readlane_b32 s82, v3, 1                                  // 000000004D50: D2890052 00010303
	s_lshr_b32 s61, s82, 24                                    // 000000004D58: 8F3D9852
	s_and_b32 s82, s82, 0xffffff                               // 000000004D5C: 8652FF52 00FFFFFF
	s_mul_i32 s82, s82, s71                                    // 000000004D64: 92524752
	s_mul_i32 s61, s60, s61                                    // 000000004D68: 923D3D3C
	s_add_u32 s82, s82, s61                                    // 000000004D6C: 80523D52
	v_mul_lo_u32 v7, v4, s82                                   // 000000004D70: D2850007 0000A504
	v_add_u32_e32 v40, v6, v7                                  // 000000004D78: 68500F06
	v_readlane_b32 s82, v3, 2                                  // 000000004D7C: D2890052 00010503
	s_lshr_b32 s61, s82, 24                                    // 000000004D84: 8F3D9852
	s_and_b32 s82, s82, 0xffffff                               // 000000004D88: 8652FF52 00FFFFFF
	s_mul_i32 s82, s82, s71                                    // 000000004D90: 92524752
	s_mul_i32 s61, s60, s61                                    // 000000004D94: 923D3D3C
	s_add_u32 s82, s82, s61                                    // 000000004D98: 80523D52
	v_mul_lo_u32 v6, v5, s82                                   // 000000004D9C: D2850006 0000A505
	v_readlane_b32 s82, v3, 3                                  // 000000004DA4: D2890052 00010703
	s_lshr_b32 s61, s82, 24                                    // 000000004DAC: 8F3D9852
	s_and_b32 s82, s82, 0xffffff                               // 000000004DB0: 8652FF52 00FFFFFF
	s_mul_i32 s82, s82, s71                                    // 000000004DB8: 92524752
	s_mul_i32 s61, s60, s61                                    // 000000004DBC: 923D3D3C
	s_add_u32 s82, s82, s61                                    // 000000004DC0: 80523D52
	v_mul_lo_u32 v7, v4, s82                                   // 000000004DC4: D2850007 0000A504
	v_add_u32_e32 v41, v6, v7                                  // 000000004DCC: 68520F06
	v_readlane_b32 s82, v3, 4                                  // 000000004DD0: D2890052 00010903
	s_lshr_b32 s61, s82, 24                                    // 000000004DD8: 8F3D9852
	s_and_b32 s82, s82, 0xffffff                               // 000000004DDC: 8652FF52 00FFFFFF
	s_mul_i32 s82, s82, s71                                    // 000000004DE4: 92524752
	s_mul_i32 s61, s60, s61                                    // 000000004DE8: 923D3D3C
	s_add_u32 s82, s82, s61                                    // 000000004DEC: 80523D52
	v_mul_lo_u32 v6, v5, s82                                   // 000000004DF0: D2850006 0000A505
	v_readlane_b32 s82, v3, 5                                  // 000000004DF8: D2890052 00010B03
	s_lshr_b32 s61, s82, 24                                    // 000000004E00: 8F3D9852
	s_and_b32 s82, s82, 0xffffff                               // 000000004E04: 8652FF52 00FFFFFF
	s_mul_i32 s82, s82, s71                                    // 000000004E0C: 92524752
	s_mul_i32 s61, s60, s61                                    // 000000004E10: 923D3D3C
	s_add_u32 s82, s82, s61                                    // 000000004E14: 80523D52
	v_mul_lo_u32 v7, v4, s82                                   // 000000004E18: D2850007 0000A504
	v_add_u32_e32 v42, v6, v7                                  // 000000004E20: 68540F06
	v_readlane_b32 s82, v3, 6                                  // 000000004E24: D2890052 00010D03
	s_lshr_b32 s61, s82, 24                                    // 000000004E2C: 8F3D9852
	s_and_b32 s82, s82, 0xffffff                               // 000000004E30: 8652FF52 00FFFFFF
	s_mul_i32 s82, s82, s71                                    // 000000004E38: 92524752
	s_mul_i32 s61, s60, s61                                    // 000000004E3C: 923D3D3C
	s_add_u32 s82, s82, s61                                    // 000000004E40: 80523D52
	v_mul_lo_u32 v6, v5, s82                                   // 000000004E44: D2850006 0000A505
	v_readlane_b32 s82, v3, 7                                  // 000000004E4C: D2890052 00010F03
	s_lshr_b32 s61, s82, 24                                    // 000000004E54: 8F3D9852
	s_and_b32 s82, s82, 0xffffff                               // 000000004E58: 8652FF52 00FFFFFF
	s_mul_i32 s82, s82, s71                                    // 000000004E60: 92524752
	s_mul_i32 s61, s60, s61                                    // 000000004E64: 923D3D3C
	s_add_u32 s82, s82, s61                                    // 000000004E68: 80523D52
	v_mul_lo_u32 v7, v4, s82                                   // 000000004E6C: D2850007 0000A504
	v_add_u32_e32 v43, v6, v7                                  // 000000004E74: 68560F06
	v_readlane_b32 s82, v3, 8                                  // 000000004E78: D2890052 00011103
	s_lshr_b32 s61, s82, 24                                    // 000000004E80: 8F3D9852
	s_and_b32 s82, s82, 0xffffff                               // 000000004E84: 8652FF52 00FFFFFF
	s_mul_i32 s82, s82, s71                                    // 000000004E8C: 92524752
	s_mul_i32 s61, s60, s61                                    // 000000004E90: 923D3D3C
	s_add_u32 s82, s82, s61                                    // 000000004E94: 80523D52
	v_mul_lo_u32 v6, v5, s82                                   // 000000004E98: D2850006 0000A505
	v_readlane_b32 s82, v3, 9                                  // 000000004EA0: D2890052 00011303
	s_lshr_b32 s61, s82, 24                                    // 000000004EA8: 8F3D9852
	s_and_b32 s82, s82, 0xffffff                               // 000000004EAC: 8652FF52 00FFFFFF
	s_mul_i32 s82, s82, s71                                    // 000000004EB4: 92524752
	s_mul_i32 s61, s60, s61                                    // 000000004EB8: 923D3D3C
	s_add_u32 s82, s82, s61                                    // 000000004EBC: 80523D52
	v_mul_lo_u32 v7, v4, s82                                   // 000000004EC0: D2850007 0000A504
	v_add_u32_e32 v44, v6, v7                                  // 000000004EC8: 68580F06
	v_readlane_b32 s82, v3, 10                                 // 000000004ECC: D2890052 00011503
	s_lshr_b32 s61, s82, 24                                    // 000000004ED4: 8F3D9852
	s_and_b32 s82, s82, 0xffffff                               // 000000004ED8: 8652FF52 00FFFFFF
	s_mul_i32 s82, s82, s71                                    // 000000004EE0: 92524752
	s_mul_i32 s61, s60, s61                                    // 000000004EE4: 923D3D3C
	s_add_u32 s82, s82, s61                                    // 000000004EE8: 80523D52
	v_mul_lo_u32 v6, v5, s82                                   // 000000004EEC: D2850006 0000A505
	v_readlane_b32 s82, v3, 11                                 // 000000004EF4: D2890052 00011703
	s_lshr_b32 s61, s82, 24                                    // 000000004EFC: 8F3D9852
	s_and_b32 s82, s82, 0xffffff                               // 000000004F00: 8652FF52 00FFFFFF
	s_mul_i32 s82, s82, s71                                    // 000000004F08: 92524752
	s_mul_i32 s61, s60, s61                                    // 000000004F0C: 923D3D3C
	s_add_u32 s82, s82, s61                                    // 000000004F10: 80523D52
	v_mul_lo_u32 v7, v4, s82                                   // 000000004F14: D2850007 0000A504
	v_add_u32_e32 v45, v6, v7                                  // 000000004F1C: 685A0F06
	v_and_b32_e32 v4, 31, v0                                   // 000000004F20: 2608009F
	v_lshrrev_b32_e32 v4, 1, v4                                // 000000004F24: 20080881
	s_cmp_eq_u32 s88, 0                                        // 000000004F28: BF068058
	s_cselect_b32 s61, 2, 4                                    // 000000004F2C: 853D8482
	v_mul_lo_u32 v4, v4, s61                                   // 000000004F30: D2850004 00007B04
	v_and_b32_e64 v5, v0, 1                                    // 000000004F38: D1130005 00010300
	v_add_u32_e32 v4, v4, v5                                   // 000000004F40: 68080B04
	v_lshlrev_b32_e32 v4, 2, v4                                // 000000004F44: 24080882
	v_add_u32_e32 v40, v40, v4                                 // 000000004F48: 68500928
	v_add_u32_e32 v41, v41, v4                                 // 000000004F4C: 68520929
	v_add_u32_e32 v42, v42, v4                                 // 000000004F50: 6854092A
	v_add_u32_e32 v43, v43, v4                                 // 000000004F54: 6856092B
	v_add_u32_e32 v44, v44, v4                                 // 000000004F58: 6858092C
	v_add_u32_e32 v45, v45, v4                                 // 000000004F5C: 685A092D
	s_waitcnt lgkmcnt(0)                                       // 000000004F60: BF8CC07F
	s_barrier                                                  // 000000004F64: BF8A0000
	ds_read_b32 v48, v21                                       // 000000004F68: D86C0000 30000015
	ds_read_b32 v49, v21 offset:64                             // 000000004F70: D86C0040 31000015
	ds_read_b32 v52, v21 offset:2176                           // 000000004F78: D86C0880 34000015
	ds_read_b32 v53, v21 offset:2240                           // 000000004F80: D86C08C0 35000015
	ds_read_b32 v56, v21 offset:4352                           // 000000004F88: D86C1100 38000015
	ds_read_b32 v57, v21 offset:4416                           // 000000004F90: D86C1140 39000015
	ds_read_b32 v60, v21 offset:6528                           // 000000004F98: D86C1980 3C000015
	ds_read_b32 v61, v21 offset:6592                           // 000000004FA0: D86C19C0 3D000015
	ds_read_b32 v64, v21 offset:8704                           // 000000004FA8: D86C2200 40000015
	ds_read_b32 v65, v21 offset:8768                           // 000000004FB0: D86C2240 41000015
	ds_read_b32 v68, v21 offset:10880                          // 000000004FB8: D86C2A80 44000015
	ds_read_b32 v69, v21 offset:10944                          // 000000004FC0: D86C2AC0 45000015
	s_waitcnt lgkmcnt(0)                                       // 000000004FC8: BF8CC07F
	s_mov_b32 s36, -1                                          // 000000004FCC: BEA400C1
	s_mov_b32 s37, -1                                          // 000000004FD0: BEA500C1
	v_mov_b32_e32 v7, 0                                        // 000000004FD4: 7E0E0280
	s_mov_b64 exec, s[36:37]                                   // 000000004FD8: BEFE0124
	v_mov_b32_e32 v6, v40                                      // 000000004FDC: 7E0C0328
	s_mov_b64 s[60:61], 0                                      // 000000004FE0: BEBC0180
	v_readlane_b32 s82, v3, 0                                  // 000000004FE4: D2890052 00010103
	s_and_b32 s82, s82, 0xffffff                               // 000000004FEC: 8652FF52 00FFFFFF
	s_cmp_lt_u32 s82, s66                                      // 000000004FF4: BF0A4252
	s_cselect_b32 s20, s36, s60                                // 000000004FF8: 85143C24
	v_readlane_b32 s82, v3, 1                                  // 000000004FFC: D2890052 00010303
	s_and_b32 s82, s82, 0xffffff                               // 000000005004: 8652FF52 00FFFFFF
	s_cmp_lt_u32 s82, s66                                      // 00000000500C: BF0A4252
	s_cselect_b32 s21, s36, s60                                // 000000005010: 85153C24
	s_mov_b64 exec, s[20:21]                                   // 000000005014: BEFE0114
	global_atomic_add_f32 v6, v48, s[8:9]                      // 000000005018: DD348000 00083006
	global_atomic_add_f32 v6, v52, s[8:9] offset:256           // 000000005020: DD348100 00083406
	s_mov_b64 exec, s[36:37]                                   // 000000005028: BEFE0124
	v_mov_b32_e32 v6, v41                                      // 00000000502C: 7E0C0329
	s_mov_b64 s[60:61], 0                                      // 000000005030: BEBC0180
	v_readlane_b32 s82, v3, 2                                  // 000000005034: D2890052 00010503
	s_and_b32 s82, s82, 0xffffff                               // 00000000503C: 8652FF52 00FFFFFF
	s_cmp_lt_u32 s82, s66                                      // 000000005044: BF0A4252
	s_cselect_b32 s20, s36, s60                                // 000000005048: 85143C24
	v_readlane_b32 s82, v3, 3                                  // 00000000504C: D2890052 00010703
	s_and_b32 s82, s82, 0xffffff                               // 000000005054: 8652FF52 00FFFFFF
	s_cmp_lt_u32 s82, s66                                      // 00000000505C: BF0A4252
	s_cselect_b32 s21, s36, s60                                // 000000005060: 85153C24
	s_mov_b64 exec, s[20:21]                                   // 000000005064: BEFE0114
	global_atomic_add_f32 v6, v49, s[8:9]                      // 000000005068: DD348000 00083106
	global_atomic_add_f32 v6, v53, s[8:9] offset:256           // 000000005070: DD348100 00083506
	s_mov_b64 exec, s[36:37]                                   // 000000005078: BEFE0124
	v_mov_b32_e32 v6, v42                                      // 00000000507C: 7E0C032A
	s_mov_b64 s[60:61], 0                                      // 000000005080: BEBC0180
	v_readlane_b32 s82, v3, 4                                  // 000000005084: D2890052 00010903
	s_and_b32 s82, s82, 0xffffff                               // 00000000508C: 8652FF52 00FFFFFF
	s_cmp_lt_u32 s82, s66                                      // 000000005094: BF0A4252
	s_cselect_b32 s20, s36, s60                                // 000000005098: 85143C24
	v_readlane_b32 s82, v3, 5                                  // 00000000509C: D2890052 00010B03
	s_and_b32 s82, s82, 0xffffff                               // 0000000050A4: 8652FF52 00FFFFFF
	s_cmp_lt_u32 s82, s66                                      // 0000000050AC: BF0A4252
	s_cselect_b32 s21, s36, s60                                // 0000000050B0: 85153C24
	s_mov_b64 exec, s[20:21]                                   // 0000000050B4: BEFE0114
	global_atomic_add_f32 v6, v56, s[8:9]                      // 0000000050B8: DD348000 00083806
	global_atomic_add_f32 v6, v60, s[8:9] offset:256           // 0000000050C0: DD348100 00083C06
	s_mov_b64 exec, s[36:37]                                   // 0000000050C8: BEFE0124
	v_mov_b32_e32 v6, v43                                      // 0000000050CC: 7E0C032B
	s_mov_b64 s[60:61], 0                                      // 0000000050D0: BEBC0180
	v_readlane_b32 s82, v3, 6                                  // 0000000050D4: D2890052 00010D03
	s_and_b32 s82, s82, 0xffffff                               // 0000000050DC: 8652FF52 00FFFFFF
	s_cmp_lt_u32 s82, s66                                      // 0000000050E4: BF0A4252
	s_cselect_b32 s20, s36, s60                                // 0000000050E8: 85143C24
	v_readlane_b32 s82, v3, 7                                  // 0000000050EC: D2890052 00010F03
	s_and_b32 s82, s82, 0xffffff                               // 0000000050F4: 8652FF52 00FFFFFF
	s_cmp_lt_u32 s82, s66                                      // 0000000050FC: BF0A4252
	s_cselect_b32 s21, s36, s60                                // 000000005100: 85153C24
	s_mov_b64 exec, s[20:21]                                   // 000000005104: BEFE0114
	global_atomic_add_f32 v6, v57, s[8:9]                      // 000000005108: DD348000 00083906
	global_atomic_add_f32 v6, v61, s[8:9] offset:256           // 000000005110: DD348100 00083D06
	s_mov_b64 exec, s[36:37]                                   // 000000005118: BEFE0124
	v_mov_b32_e32 v6, v44                                      // 00000000511C: 7E0C032C
	s_mov_b64 s[60:61], 0                                      // 000000005120: BEBC0180
	v_readlane_b32 s82, v3, 8                                  // 000000005124: D2890052 00011103
	s_and_b32 s82, s82, 0xffffff                               // 00000000512C: 8652FF52 00FFFFFF
	s_cmp_lt_u32 s82, s66                                      // 000000005134: BF0A4252
	s_cselect_b32 s20, s36, s60                                // 000000005138: 85143C24
	v_readlane_b32 s82, v3, 9                                  // 00000000513C: D2890052 00011303
	s_and_b32 s82, s82, 0xffffff                               // 000000005144: 8652FF52 00FFFFFF
	s_cmp_lt_u32 s82, s66                                      // 00000000514C: BF0A4252
	s_cselect_b32 s21, s36, s60                                // 000000005150: 85153C24
	s_mov_b64 exec, s[20:21]                                   // 000000005154: BEFE0114
	global_atomic_add_f32 v6, v64, s[8:9]                      // 000000005158: DD348000 00084006
	global_atomic_add_f32 v6, v68, s[8:9] offset:256           // 000000005160: DD348100 00084406
	s_mov_b64 exec, s[36:37]                                   // 000000005168: BEFE0124
	v_mov_b32_e32 v6, v45                                      // 00000000516C: 7E0C032D
	s_mov_b64 s[60:61], 0                                      // 000000005170: BEBC0180
	v_readlane_b32 s82, v3, 10                                 // 000000005174: D2890052 00011503
	s_and_b32 s82, s82, 0xffffff                               // 00000000517C: 8652FF52 00FFFFFF
	s_cmp_lt_u32 s82, s66                                      // 000000005184: BF0A4252
	s_cselect_b32 s20, s36, s60                                // 000000005188: 85143C24
	v_readlane_b32 s82, v3, 11                                 // 00000000518C: D2890052 00011703
	s_and_b32 s82, s82, 0xffffff                               // 000000005194: 8652FF52 00FFFFFF
	s_cmp_lt_u32 s82, s66                                      // 00000000519C: BF0A4252
	s_cselect_b32 s21, s36, s60                                // 0000000051A0: 85153C24
	s_mov_b64 exec, s[20:21]                                   // 0000000051A4: BEFE0114
	global_atomic_add_f32 v6, v65, s[8:9]                      // 0000000051A8: DD348000 00084106
	global_atomic_add_f32 v6, v69, s[8:9] offset:256           // 0000000051B0: DD348100 00084506
	s_mov_b64 exec, s[36:37]                                   // 0000000051B8: BEFE0124
	ds_write_b64 v20, v[50:51]                                 // 0000000051BC: D89A0000 00003214
	ds_write_b64 v20, v[54:55] offset:4352                     // 0000000051C4: D89A1100 00003614
	ds_write_b64 v20, v[58:59] offset:8704                     // 0000000051CC: D89A2200 00003A14
	ds_write_b64 v20, v[62:63] offset:2176                     // 0000000051D4: D89A0880 00003E14
	ds_write_b64 v20, v[66:67] offset:6528                     // 0000000051DC: D89A1980 00004214
	ds_write_b64 v20, v[70:71] offset:10880                    // 0000000051E4: D89A2A80 00004614
	s_waitcnt lgkmcnt(0)                                       // 0000000051EC: BF8CC07F
	s_barrier                                                  // 0000000051F0: BF8A0000
	ds_read_b32 v50, v21                                       // 0000000051F4: D86C0000 32000015
	ds_read_b32 v51, v21 offset:64                             // 0000000051FC: D86C0040 33000015
	ds_read_b32 v54, v21 offset:2176                           // 000000005204: D86C0880 36000015
	ds_read_b32 v55, v21 offset:2240                           // 00000000520C: D86C08C0 37000015
	ds_read_b32 v58, v21 offset:4352                           // 000000005214: D86C1100 3A000015
	ds_read_b32 v59, v21 offset:4416                           // 00000000521C: D86C1140 3B000015
	ds_read_b32 v62, v21 offset:6528                           // 000000005224: D86C1980 3E000015
	ds_read_b32 v63, v21 offset:6592                           // 00000000522C: D86C19C0 3F000015
	ds_read_b32 v66, v21 offset:8704                           // 000000005234: D86C2200 42000015
	ds_read_b32 v67, v21 offset:8768                           // 00000000523C: D86C2240 43000015
	ds_read_b32 v70, v21 offset:10880                          // 000000005244: D86C2A80 46000015
	ds_read_b32 v71, v21 offset:10944                          // 00000000524C: D86C2AC0 47000015
	s_waitcnt lgkmcnt(0)                                       // 000000005254: BF8CC07F
	v_mov_b32_e32 v7, 0                                        // 000000005258: 7E0E0280
	s_mov_b64 exec, s[36:37]                                   // 00000000525C: BEFE0124
	v_mov_b32_e32 v6, v40                                      // 000000005260: 7E0C0328
	s_mov_b64 s[60:61], 0                                      // 000000005264: BEBC0180
	v_readlane_b32 s82, v3, 0                                  // 000000005268: D2890052 00010103
	s_and_b32 s82, s82, 0xffffff                               // 000000005270: 8652FF52 00FFFFFF
	s_cmp_lt_u32 s82, s66                                      // 000000005278: BF0A4252
	s_cselect_b32 s20, s36, s60                                // 00000000527C: 85143C24
	v_readlane_b32 s82, v3, 1                                  // 000000005280: D2890052 00010303
	s_and_b32 s82, s82, 0xffffff                               // 000000005288: 8652FF52 00FFFFFF
	s_cmp_lt_u32 s82, s66                                      // 000000005290: BF0A4252
	s_cselect_b32 s21, s36, s60                                // 000000005294: 85153C24
	s_mov_b64 exec, s[20:21]                                   // 000000005298: BEFE0114
	global_atomic_add_f32 v6, v50, s[8:9] offset:8             // 00000000529C: DD348008 00083206
	global_atomic_add_f32 v6, v54, s[8:9] offset:264           // 0000000052A4: DD348108 00083606
	s_mov_b64 exec, s[36:37]                                   // 0000000052AC: BEFE0124
	v_mov_b32_e32 v6, v41                                      // 0000000052B0: 7E0C0329
	s_mov_b64 s[60:61], 0                                      // 0000000052B4: BEBC0180
	v_readlane_b32 s82, v3, 2                                  // 0000000052B8: D2890052 00010503
	s_and_b32 s82, s82, 0xffffff                               // 0000000052C0: 8652FF52 00FFFFFF
	s_cmp_lt_u32 s82, s66                                      // 0000000052C8: BF0A4252
	s_cselect_b32 s20, s36, s60                                // 0000000052CC: 85143C24
	v_readlane_b32 s82, v3, 3                                  // 0000000052D0: D2890052 00010703
	s_and_b32 s82, s82, 0xffffff                               // 0000000052D8: 8652FF52 00FFFFFF
	s_cmp_lt_u32 s82, s66                                      // 0000000052E0: BF0A4252
	s_cselect_b32 s21, s36, s60                                // 0000000052E4: 85153C24
	s_mov_b64 exec, s[20:21]                                   // 0000000052E8: BEFE0114
	global_atomic_add_f32 v6, v51, s[8:9] offset:8             // 0000000052EC: DD348008 00083306
	global_atomic_add_f32 v6, v55, s[8:9] offset:264           // 0000000052F4: DD348108 00083706
	s_mov_b64 exec, s[36:37]                                   // 0000000052FC: BEFE0124
	v_mov_b32_e32 v6, v42                                      // 000000005300: 7E0C032A
	s_mov_b64 s[60:61], 0                                      // 000000005304: BEBC0180
	v_readlane_b32 s82, v3, 4                                  // 000000005308: D2890052 00010903
	s_and_b32 s82, s82, 0xffffff                               // 000000005310: 8652FF52 00FFFFFF
	s_cmp_lt_u32 s82, s66                                      // 000000005318: BF0A4252
	s_cselect_b32 s20, s36, s60                                // 00000000531C: 85143C24
	v_readlane_b32 s82, v3, 5                                  // 000000005320: D2890052 00010B03
	s_and_b32 s82, s82, 0xffffff                               // 000000005328: 8652FF52 00FFFFFF
	s_cmp_lt_u32 s82, s66                                      // 000000005330: BF0A4252
	s_cselect_b32 s21, s36, s60                                // 000000005334: 85153C24
	s_mov_b64 exec, s[20:21]                                   // 000000005338: BEFE0114
	global_atomic_add_f32 v6, v58, s[8:9] offset:8             // 00000000533C: DD348008 00083A06
	global_atomic_add_f32 v6, v62, s[8:9] offset:264           // 000000005344: DD348108 00083E06
	s_mov_b64 exec, s[36:37]                                   // 00000000534C: BEFE0124
	v_mov_b32_e32 v6, v43                                      // 000000005350: 7E0C032B
	s_mov_b64 s[60:61], 0                                      // 000000005354: BEBC0180
	v_readlane_b32 s82, v3, 6                                  // 000000005358: D2890052 00010D03
	s_and_b32 s82, s82, 0xffffff                               // 000000005360: 8652FF52 00FFFFFF
	s_cmp_lt_u32 s82, s66                                      // 000000005368: BF0A4252
	s_cselect_b32 s20, s36, s60                                // 00000000536C: 85143C24
	v_readlane_b32 s82, v3, 7                                  // 000000005370: D2890052 00010F03
	s_and_b32 s82, s82, 0xffffff                               // 000000005378: 8652FF52 00FFFFFF
	s_cmp_lt_u32 s82, s66                                      // 000000005380: BF0A4252
	s_cselect_b32 s21, s36, s60                                // 000000005384: 85153C24
	s_mov_b64 exec, s[20:21]                                   // 000000005388: BEFE0114
	global_atomic_add_f32 v6, v59, s[8:9] offset:8             // 00000000538C: DD348008 00083B06
	global_atomic_add_f32 v6, v63, s[8:9] offset:264           // 000000005394: DD348108 00083F06
	s_mov_b64 exec, s[36:37]                                   // 00000000539C: BEFE0124
	v_mov_b32_e32 v6, v44                                      // 0000000053A0: 7E0C032C
	s_mov_b64 s[60:61], 0                                      // 0000000053A4: BEBC0180
	v_readlane_b32 s82, v3, 8                                  // 0000000053A8: D2890052 00011103
	s_and_b32 s82, s82, 0xffffff                               // 0000000053B0: 8652FF52 00FFFFFF
	s_cmp_lt_u32 s82, s66                                      // 0000000053B8: BF0A4252
	s_cselect_b32 s20, s36, s60                                // 0000000053BC: 85143C24
	v_readlane_b32 s82, v3, 9                                  // 0000000053C0: D2890052 00011303
	s_and_b32 s82, s82, 0xffffff                               // 0000000053C8: 8652FF52 00FFFFFF
	s_cmp_lt_u32 s82, s66                                      // 0000000053D0: BF0A4252
	s_cselect_b32 s21, s36, s60                                // 0000000053D4: 85153C24
	s_mov_b64 exec, s[20:21]                                   // 0000000053D8: BEFE0114
	global_atomic_add_f32 v6, v66, s[8:9] offset:8             // 0000000053DC: DD348008 00084206
	global_atomic_add_f32 v6, v70, s[8:9] offset:264           // 0000000053E4: DD348108 00084606
	s_mov_b64 exec, s[36:37]                                   // 0000000053EC: BEFE0124
	v_mov_b32_e32 v6, v45                                      // 0000000053F0: 7E0C032D
	s_mov_b64 s[60:61], 0                                      // 0000000053F4: BEBC0180
	v_readlane_b32 s82, v3, 10                                 // 0000000053F8: D2890052 00011503
	s_and_b32 s82, s82, 0xffffff                               // 000000005400: 8652FF52 00FFFFFF
	s_cmp_lt_u32 s82, s66                                      // 000000005408: BF0A4252
	s_cselect_b32 s20, s36, s60                                // 00000000540C: 85143C24
	v_readlane_b32 s82, v3, 11                                 // 000000005410: D2890052 00011703
	s_and_b32 s82, s82, 0xffffff                               // 000000005418: 8652FF52 00FFFFFF
	s_cmp_lt_u32 s82, s66                                      // 000000005420: BF0A4252
	s_cselect_b32 s21, s36, s60                                // 000000005424: 85153C24
	s_mov_b64 exec, s[20:21]                                   // 000000005428: BEFE0114
	global_atomic_add_f32 v6, v67, s[8:9] offset:8             // 00000000542C: DD348008 00084306
	global_atomic_add_f32 v6, v71, s[8:9] offset:264           // 000000005434: DD348108 00084706
	s_mov_b64 exec, s[36:37]                                   // 00000000543C: BEFE0124
	ds_write_b64 v20, v[72:73]                                 // 000000005440: D89A0000 00004814
	ds_write_b64 v20, v[76:77] offset:4352                     // 000000005448: D89A1100 00004C14
	ds_write_b64 v20, v[80:81] offset:8704                     // 000000005450: D89A2200 00005014
	ds_write_b64 v20, v[84:85] offset:2176                     // 000000005458: D89A0880 00005414
	ds_write_b64 v20, v[88:89] offset:6528                     // 000000005460: D89A1980 00005814
	ds_write_b64 v20, v[92:93] offset:10880                    // 000000005468: D89A2A80 00005C14
	s_waitcnt lgkmcnt(0)                                       // 000000005470: BF8CC07F
	s_barrier                                                  // 000000005474: BF8A0000
	ds_read_b32 v72, v21                                       // 000000005478: D86C0000 48000015
	ds_read_b32 v73, v21 offset:64                             // 000000005480: D86C0040 49000015
	ds_read_b32 v76, v21 offset:2176                           // 000000005488: D86C0880 4C000015
	ds_read_b32 v77, v21 offset:2240                           // 000000005490: D86C08C0 4D000015
	ds_read_b32 v80, v21 offset:4352                           // 000000005498: D86C1100 50000015
	ds_read_b32 v81, v21 offset:4416                           // 0000000054A0: D86C1140 51000015
	ds_read_b32 v84, v21 offset:6528                           // 0000000054A8: D86C1980 54000015
	ds_read_b32 v85, v21 offset:6592                           // 0000000054B0: D86C19C0 55000015
	ds_read_b32 v88, v21 offset:8704                           // 0000000054B8: D86C2200 58000015
	ds_read_b32 v89, v21 offset:8768                           // 0000000054C0: D86C2240 59000015
	ds_read_b32 v92, v21 offset:10880                          // 0000000054C8: D86C2A80 5C000015
	ds_read_b32 v93, v21 offset:10944                          // 0000000054D0: D86C2AC0 5D000015
	s_mul_i32 s60, s65, 4                                      // 0000000054D8: 923C8441
	s_add_u32 s8, s60, s8                                      // 0000000054DC: 8008083C
	s_addc_u32 s9, 0, s9                                       // 0000000054E0: 82090980
	s_waitcnt lgkmcnt(0)                                       // 0000000054E4: BF8CC07F
	v_mov_b32_e32 v7, 0                                        // 0000000054E8: 7E0E0280
	s_mov_b64 exec, s[36:37]                                   // 0000000054EC: BEFE0124
	v_mov_b32_e32 v6, v40                                      // 0000000054F0: 7E0C0328
	s_mov_b64 s[60:61], 0                                      // 0000000054F4: BEBC0180
	v_readlane_b32 s82, v3, 0                                  // 0000000054F8: D2890052 00010103
	s_and_b32 s82, s82, 0xffffff                               // 000000005500: 8652FF52 00FFFFFF
	s_cmp_lt_u32 s82, s66                                      // 000000005508: BF0A4252
	s_cselect_b32 s20, s36, s60                                // 00000000550C: 85143C24
	v_readlane_b32 s82, v3, 1                                  // 000000005510: D2890052 00010303
	s_and_b32 s82, s82, 0xffffff                               // 000000005518: 8652FF52 00FFFFFF
	s_cmp_lt_u32 s82, s66                                      // 000000005520: BF0A4252
	s_cselect_b32 s21, s36, s60                                // 000000005524: 85153C24
	s_mov_b64 exec, s[20:21]                                   // 000000005528: BEFE0114
	global_atomic_add_f32 v6, v72, s[8:9]                      // 00000000552C: DD348000 00084806
	global_atomic_add_f32 v6, v76, s[8:9] offset:256           // 000000005534: DD348100 00084C06
	s_mov_b64 exec, s[36:37]                                   // 00000000553C: BEFE0124
	v_mov_b32_e32 v6, v41                                      // 000000005540: 7E0C0329
	s_mov_b64 s[60:61], 0                                      // 000000005544: BEBC0180
	v_readlane_b32 s82, v3, 2                                  // 000000005548: D2890052 00010503
	s_and_b32 s82, s82, 0xffffff                               // 000000005550: 8652FF52 00FFFFFF
	s_cmp_lt_u32 s82, s66                                      // 000000005558: BF0A4252
	s_cselect_b32 s20, s36, s60                                // 00000000555C: 85143C24
	v_readlane_b32 s82, v3, 3                                  // 000000005560: D2890052 00010703
	s_and_b32 s82, s82, 0xffffff                               // 000000005568: 8652FF52 00FFFFFF
	s_cmp_lt_u32 s82, s66                                      // 000000005570: BF0A4252
	s_cselect_b32 s21, s36, s60                                // 000000005574: 85153C24
	s_mov_b64 exec, s[20:21]                                   // 000000005578: BEFE0114
	global_atomic_add_f32 v6, v73, s[8:9]                      // 00000000557C: DD348000 00084906
	global_atomic_add_f32 v6, v77, s[8:9] offset:256           // 000000005584: DD348100 00084D06
	s_mov_b64 exec, s[36:37]                                   // 00000000558C: BEFE0124
	v_mov_b32_e32 v6, v42                                      // 000000005590: 7E0C032A
	s_mov_b64 s[60:61], 0                                      // 000000005594: BEBC0180
	v_readlane_b32 s82, v3, 4                                  // 000000005598: D2890052 00010903
	s_and_b32 s82, s82, 0xffffff                               // 0000000055A0: 8652FF52 00FFFFFF
	s_cmp_lt_u32 s82, s66                                      // 0000000055A8: BF0A4252
	s_cselect_b32 s20, s36, s60                                // 0000000055AC: 85143C24
	v_readlane_b32 s82, v3, 5                                  // 0000000055B0: D2890052 00010B03
	s_and_b32 s82, s82, 0xffffff                               // 0000000055B8: 8652FF52 00FFFFFF
	s_cmp_lt_u32 s82, s66                                      // 0000000055C0: BF0A4252
	s_cselect_b32 s21, s36, s60                                // 0000000055C4: 85153C24
	s_mov_b64 exec, s[20:21]                                   // 0000000055C8: BEFE0114
	global_atomic_add_f32 v6, v80, s[8:9]                      // 0000000055CC: DD348000 00085006
	global_atomic_add_f32 v6, v84, s[8:9] offset:256           // 0000000055D4: DD348100 00085406
	s_mov_b64 exec, s[36:37]                                   // 0000000055DC: BEFE0124
	v_mov_b32_e32 v6, v43                                      // 0000000055E0: 7E0C032B
	s_mov_b64 s[60:61], 0                                      // 0000000055E4: BEBC0180
	v_readlane_b32 s82, v3, 6                                  // 0000000055E8: D2890052 00010D03
	s_and_b32 s82, s82, 0xffffff                               // 0000000055F0: 8652FF52 00FFFFFF
	s_cmp_lt_u32 s82, s66                                      // 0000000055F8: BF0A4252
	s_cselect_b32 s20, s36, s60                                // 0000000055FC: 85143C24
	v_readlane_b32 s82, v3, 7                                  // 000000005600: D2890052 00010F03
	s_and_b32 s82, s82, 0xffffff                               // 000000005608: 8652FF52 00FFFFFF
	s_cmp_lt_u32 s82, s66                                      // 000000005610: BF0A4252
	s_cselect_b32 s21, s36, s60                                // 000000005614: 85153C24
	s_mov_b64 exec, s[20:21]                                   // 000000005618: BEFE0114
	global_atomic_add_f32 v6, v81, s[8:9]                      // 00000000561C: DD348000 00085106
	global_atomic_add_f32 v6, v85, s[8:9] offset:256           // 000000005624: DD348100 00085506
	s_mov_b64 exec, s[36:37]                                   // 00000000562C: BEFE0124
	v_mov_b32_e32 v6, v44                                      // 000000005630: 7E0C032C
	s_mov_b64 s[60:61], 0                                      // 000000005634: BEBC0180
	v_readlane_b32 s82, v3, 8                                  // 000000005638: D2890052 00011103
	s_and_b32 s82, s82, 0xffffff                               // 000000005640: 8652FF52 00FFFFFF
	s_cmp_lt_u32 s82, s66                                      // 000000005648: BF0A4252
	s_cselect_b32 s20, s36, s60                                // 00000000564C: 85143C24
	v_readlane_b32 s82, v3, 9                                  // 000000005650: D2890052 00011303
	s_and_b32 s82, s82, 0xffffff                               // 000000005658: 8652FF52 00FFFFFF
	s_cmp_lt_u32 s82, s66                                      // 000000005660: BF0A4252
	s_cselect_b32 s21, s36, s60                                // 000000005664: 85153C24
	s_mov_b64 exec, s[20:21]                                   // 000000005668: BEFE0114
	global_atomic_add_f32 v6, v88, s[8:9]                      // 00000000566C: DD348000 00085806
	global_atomic_add_f32 v6, v92, s[8:9] offset:256           // 000000005674: DD348100 00085C06
	s_mov_b64 exec, s[36:37]                                   // 00000000567C: BEFE0124
	v_mov_b32_e32 v6, v45                                      // 000000005680: 7E0C032D
	s_mov_b64 s[60:61], 0                                      // 000000005684: BEBC0180
	v_readlane_b32 s82, v3, 10                                 // 000000005688: D2890052 00011503
	s_and_b32 s82, s82, 0xffffff                               // 000000005690: 8652FF52 00FFFFFF
	s_cmp_lt_u32 s82, s66                                      // 000000005698: BF0A4252
	s_cselect_b32 s20, s36, s60                                // 00000000569C: 85143C24
	v_readlane_b32 s82, v3, 11                                 // 0000000056A0: D2890052 00011703
	s_and_b32 s82, s82, 0xffffff                               // 0000000056A8: 8652FF52 00FFFFFF
	s_cmp_lt_u32 s82, s66                                      // 0000000056B0: BF0A4252
	s_cselect_b32 s21, s36, s60                                // 0000000056B4: 85153C24
	s_mov_b64 exec, s[20:21]                                   // 0000000056B8: BEFE0114
	global_atomic_add_f32 v6, v89, s[8:9]                      // 0000000056BC: DD348000 00085906
	global_atomic_add_f32 v6, v93, s[8:9] offset:256           // 0000000056C4: DD348100 00085D06
	s_mov_b64 exec, s[36:37]                                   // 0000000056CC: BEFE0124
	ds_write_b64 v20, v[74:75]                                 // 0000000056D0: D89A0000 00004A14
	ds_write_b64 v20, v[78:79] offset:4352                     // 0000000056D8: D89A1100 00004E14
	ds_write_b64 v20, v[82:83] offset:8704                     // 0000000056E0: D89A2200 00005214
	ds_write_b64 v20, v[86:87] offset:2176                     // 0000000056E8: D89A0880 00005614
	ds_write_b64 v20, v[90:91] offset:6528                     // 0000000056F0: D89A1980 00005A14
	ds_write_b64 v20, v[94:95] offset:10880                    // 0000000056F8: D89A2A80 00005E14
	s_waitcnt lgkmcnt(0)                                       // 000000005700: BF8CC07F
	s_barrier                                                  // 000000005704: BF8A0000
	ds_read_b32 v74, v21                                       // 000000005708: D86C0000 4A000015
	ds_read_b32 v75, v21 offset:64                             // 000000005710: D86C0040 4B000015
	ds_read_b32 v78, v21 offset:2176                           // 000000005718: D86C0880 4E000015
	ds_read_b32 v79, v21 offset:2240                           // 000000005720: D86C08C0 4F000015
	ds_read_b32 v82, v21 offset:4352                           // 000000005728: D86C1100 52000015
	ds_read_b32 v83, v21 offset:4416                           // 000000005730: D86C1140 53000015
	ds_read_b32 v86, v21 offset:6528                           // 000000005738: D86C1980 56000015
	ds_read_b32 v87, v21 offset:6592                           // 000000005740: D86C19C0 57000015
	ds_read_b32 v90, v21 offset:8704                           // 000000005748: D86C2200 5A000015
	ds_read_b32 v91, v21 offset:8768                           // 000000005750: D86C2240 5B000015
	ds_read_b32 v94, v21 offset:10880                          // 000000005758: D86C2A80 5E000015
	ds_read_b32 v95, v21 offset:10944                          // 000000005760: D86C2AC0 5F000015
	s_waitcnt lgkmcnt(0)                                       // 000000005768: BF8CC07F
	v_mov_b32_e32 v7, 0                                        // 00000000576C: 7E0E0280
	s_mov_b64 exec, s[36:37]                                   // 000000005770: BEFE0124
	v_mov_b32_e32 v6, v40                                      // 000000005774: 7E0C0328
	s_mov_b64 s[60:61], 0                                      // 000000005778: BEBC0180
	v_readlane_b32 s82, v3, 0                                  // 00000000577C: D2890052 00010103
	s_and_b32 s82, s82, 0xffffff                               // 000000005784: 8652FF52 00FFFFFF
	s_cmp_lt_u32 s82, s66                                      // 00000000578C: BF0A4252
	s_cselect_b32 s20, s36, s60                                // 000000005790: 85143C24
	v_readlane_b32 s82, v3, 1                                  // 000000005794: D2890052 00010303
	s_and_b32 s82, s82, 0xffffff                               // 00000000579C: 8652FF52 00FFFFFF
	s_cmp_lt_u32 s82, s66                                      // 0000000057A4: BF0A4252
	s_cselect_b32 s21, s36, s60                                // 0000000057A8: 85153C24
	s_mov_b64 exec, s[20:21]                                   // 0000000057AC: BEFE0114
	global_atomic_add_f32 v6, v74, s[8:9] offset:8             // 0000000057B0: DD348008 00084A06
	global_atomic_add_f32 v6, v78, s[8:9] offset:264           // 0000000057B8: DD348108 00084E06
	s_mov_b64 exec, s[36:37]                                   // 0000000057C0: BEFE0124
	v_mov_b32_e32 v6, v41                                      // 0000000057C4: 7E0C0329
	s_mov_b64 s[60:61], 0                                      // 0000000057C8: BEBC0180
	v_readlane_b32 s82, v3, 2                                  // 0000000057CC: D2890052 00010503
	s_and_b32 s82, s82, 0xffffff                               // 0000000057D4: 8652FF52 00FFFFFF
	s_cmp_lt_u32 s82, s66                                      // 0000000057DC: BF0A4252
	s_cselect_b32 s20, s36, s60                                // 0000000057E0: 85143C24
	v_readlane_b32 s82, v3, 3                                  // 0000000057E4: D2890052 00010703
	s_and_b32 s82, s82, 0xffffff                               // 0000000057EC: 8652FF52 00FFFFFF
	s_cmp_lt_u32 s82, s66                                      // 0000000057F4: BF0A4252
	s_cselect_b32 s21, s36, s60                                // 0000000057F8: 85153C24
	s_mov_b64 exec, s[20:21]                                   // 0000000057FC: BEFE0114
	global_atomic_add_f32 v6, v75, s[8:9] offset:8             // 000000005800: DD348008 00084B06
	global_atomic_add_f32 v6, v79, s[8:9] offset:264           // 000000005808: DD348108 00084F06
	s_mov_b64 exec, s[36:37]                                   // 000000005810: BEFE0124
	v_mov_b32_e32 v6, v42                                      // 000000005814: 7E0C032A
	s_mov_b64 s[60:61], 0                                      // 000000005818: BEBC0180
	v_readlane_b32 s82, v3, 4                                  // 00000000581C: D2890052 00010903
	s_and_b32 s82, s82, 0xffffff                               // 000000005824: 8652FF52 00FFFFFF
	s_cmp_lt_u32 s82, s66                                      // 00000000582C: BF0A4252
	s_cselect_b32 s20, s36, s60                                // 000000005830: 85143C24
	v_readlane_b32 s82, v3, 5                                  // 000000005834: D2890052 00010B03
	s_and_b32 s82, s82, 0xffffff                               // 00000000583C: 8652FF52 00FFFFFF
	s_cmp_lt_u32 s82, s66                                      // 000000005844: BF0A4252
	s_cselect_b32 s21, s36, s60                                // 000000005848: 85153C24
	s_mov_b64 exec, s[20:21]                                   // 00000000584C: BEFE0114
	global_atomic_add_f32 v6, v82, s[8:9] offset:8             // 000000005850: DD348008 00085206
	global_atomic_add_f32 v6, v86, s[8:9] offset:264           // 000000005858: DD348108 00085606
	s_mov_b64 exec, s[36:37]                                   // 000000005860: BEFE0124
	v_mov_b32_e32 v6, v43                                      // 000000005864: 7E0C032B
	s_mov_b64 s[60:61], 0                                      // 000000005868: BEBC0180
	v_readlane_b32 s82, v3, 6                                  // 00000000586C: D2890052 00010D03
	s_and_b32 s82, s82, 0xffffff                               // 000000005874: 8652FF52 00FFFFFF
	s_cmp_lt_u32 s82, s66                                      // 00000000587C: BF0A4252
	s_cselect_b32 s20, s36, s60                                // 000000005880: 85143C24
	v_readlane_b32 s82, v3, 7                                  // 000000005884: D2890052 00010F03
	s_and_b32 s82, s82, 0xffffff                               // 00000000588C: 8652FF52 00FFFFFF
	s_cmp_lt_u32 s82, s66                                      // 000000005894: BF0A4252
	s_cselect_b32 s21, s36, s60                                // 000000005898: 85153C24
	s_mov_b64 exec, s[20:21]                                   // 00000000589C: BEFE0114
	global_atomic_add_f32 v6, v83, s[8:9] offset:8             // 0000000058A0: DD348008 00085306
	global_atomic_add_f32 v6, v87, s[8:9] offset:264           // 0000000058A8: DD348108 00085706
	s_mov_b64 exec, s[36:37]                                   // 0000000058B0: BEFE0124
	v_mov_b32_e32 v6, v44                                      // 0000000058B4: 7E0C032C
	s_mov_b64 s[60:61], 0                                      // 0000000058B8: BEBC0180
	v_readlane_b32 s82, v3, 8                                  // 0000000058BC: D2890052 00011103
	s_and_b32 s82, s82, 0xffffff                               // 0000000058C4: 8652FF52 00FFFFFF
	s_cmp_lt_u32 s82, s66                                      // 0000000058CC: BF0A4252
	s_cselect_b32 s20, s36, s60                                // 0000000058D0: 85143C24
	v_readlane_b32 s82, v3, 9                                  // 0000000058D4: D2890052 00011303
	s_and_b32 s82, s82, 0xffffff                               // 0000000058DC: 8652FF52 00FFFFFF
	s_cmp_lt_u32 s82, s66                                      // 0000000058E4: BF0A4252
	s_cselect_b32 s21, s36, s60                                // 0000000058E8: 85153C24
	s_mov_b64 exec, s[20:21]                                   // 0000000058EC: BEFE0114
	global_atomic_add_f32 v6, v90, s[8:9] offset:8             // 0000000058F0: DD348008 00085A06
	global_atomic_add_f32 v6, v94, s[8:9] offset:264           // 0000000058F8: DD348108 00085E06
	s_mov_b64 exec, s[36:37]                                   // 000000005900: BEFE0124
	v_mov_b32_e32 v6, v45                                      // 000000005904: 7E0C032D
	s_mov_b64 s[60:61], 0                                      // 000000005908: BEBC0180
	v_readlane_b32 s82, v3, 10                                 // 00000000590C: D2890052 00011503
	s_and_b32 s82, s82, 0xffffff                               // 000000005914: 8652FF52 00FFFFFF
	s_cmp_lt_u32 s82, s66                                      // 00000000591C: BF0A4252
	s_cselect_b32 s20, s36, s60                                // 000000005920: 85143C24
	v_readlane_b32 s82, v3, 11                                 // 000000005924: D2890052 00011703
	s_and_b32 s82, s82, 0xffffff                               // 00000000592C: 8652FF52 00FFFFFF
	s_cmp_lt_u32 s82, s66                                      // 000000005934: BF0A4252
	s_cselect_b32 s21, s36, s60                                // 000000005938: 85153C24
	s_mov_b64 exec, s[20:21]                                   // 00000000593C: BEFE0114
	global_atomic_add_f32 v6, v91, s[8:9] offset:8             // 000000005940: DD348008 00085B06
	global_atomic_add_f32 v6, v95, s[8:9] offset:264           // 000000005948: DD348108 00085F06
	s_mov_b64 exec, s[36:37]                                   // 000000005950: BEFE0124
	s_branch label_158E                                        // 000000005954: BF8209B5

0000000000005958 <label_0BD9>:
	s_waitcnt vmcnt(2) lgkmcnt(0)                              // 000000005958: BF8C0072
	s_barrier                                                  // 00000000595C: BF8A0000
	v_mov_b32_e32 v37, v31                                     // 000000005960: 7E4A031F
	v_mov_b32_e32 v38, v32                                     // 000000005964: 7E4C0320
	v_mov_b32_e32 v39, v33                                     // 000000005968: 7E4E0321
	v_mul_f32_dpp v4, v24, v37 row_newbcast:0 row_mask:0xf bank_mask:0xf// 00000000596C: 0A084AFA FF015018
	v_mfma_f32_16x16x32_fp8_fp8 v[8:11], a[48:49], a[0:1], 0   // 000000005974: D3F30008 1A020130
	buffer_load_dword v27, v23, s[32:35], 0 offen              // 00000000597C: E0501000 80081B17
	buffer_load_dwordx4 a[64:67], v46, s[84:87], 0 offen       // 000000005984: E05C1000 8095402E
	v_mfma_f32_16x16x32_fp8_fp8 v[8:11], a[50:51], a[2:3], v[8:11]// 00000000598C: D3F30008 1C220532
	v_mfma_f32_16x16x32_fp8_fp8 v[8:11], a[52:53], a[4:5], v[8:11]// 000000005994: D3F30008 1C220934
	v_mfma_f32_16x16x32_fp8_fp8 v[8:11], a[54:55], a[6:7], v[8:11]// 00000000599C: D3F30008 1C220D36
	v_mul_f32_dpp v6, v24, v38 row_newbcast:0 row_mask:0xf bank_mask:0xf// 0000000059A4: 0A0C4CFA FF015018
	v_mfma_f32_16x16x32_fp8_fp8 v[12:15], a[48:49], a[8:9], 0  // 0000000059AC: D3F3000C 1A021130
	buffer_load_dwordx4 a[68:71], v46, s[84:87], 0 offen offset:1024// 0000000059B4: E05C1400 8095442E
	v_mfma_f32_16x16x32_fp8_fp8 v[12:15], a[50:51], a[10:11], v[12:15]// 0000000059BC: D3F3000C 1C321532
	v_mfma_f32_16x16x32_fp8_fp8 v[12:15], a[52:53], a[12:13], v[12:15]// 0000000059C4: D3F3000C 1C321934
	v_mfma_f32_16x16x32_fp8_fp8 v[12:15], a[54:55], a[14:15], v[12:15]// 0000000059CC: D3F3000C 1C321D36
	v_fma_f32 v48, v8, v4, v48                                 // 0000000059D4: D1CB0030 04C20908
	v_fma_f32 v49, v9, v4, v49                                 // 0000000059DC: D1CB0031 04C60909
	v_fma_f32 v50, v10, v4, v50                                // 0000000059E4: D1CB0032 04CA090A
	v_fma_f32 v51, v11, v4, v51                                // 0000000059EC: D1CB0033 04CE090B
	v_mul_f32_dpp v4, v24, v39 row_newbcast:0 row_mask:0xf bank_mask:0xf// 0000000059F4: 0A084EFA FF015018
	v_mfma_f32_16x16x32_fp8_fp8 v[8:11], a[48:49], a[16:17], 0 // 0000000059FC: D3F30008 1A022130
	buffer_load_dwordx4 a[72:75], v47, s[84:87], 0 offen       // 000000005A04: E05C1000 8095482F
	v_mfma_f32_16x16x32_fp8_fp8 v[8:11], a[50:51], a[18:19], v[8:11]// 000000005A0C: D3F30008 1C222532
	v_mfma_f32_16x16x32_fp8_fp8 v[8:11], a[52:53], a[20:21], v[8:11]// 000000005A14: D3F30008 1C222934
	v_mfma_f32_16x16x32_fp8_fp8 v[8:11], a[54:55], a[22:23], v[8:11]// 000000005A1C: D3F30008 1C222D36
	v_fma_f32 v52, v12, v6, v52                                // 000000005A24: D1CB0034 04D20D0C
	v_fma_f32 v53, v13, v6, v53                                // 000000005A2C: D1CB0035 04D60D0D
	v_fma_f32 v54, v14, v6, v54                                // 000000005A34: D1CB0036 04DA0D0E
	v_fma_f32 v55, v15, v6, v55                                // 000000005A3C: D1CB0037 04DE0D0F
	s_waitcnt vmcnt(4)                                         // 000000005A44: BF8C0F74
	v_mul_f32_dpp v6, v24, v37 row_newbcast:0 row_mask:0xf bank_mask:0xf// 000000005A48: 0A0C4AFA FF015018
	v_mfma_f32_16x16x32_fp8_fp8 v[12:15], a[56:57], a[0:1], 0  // 000000005A50: D3F3000C 1A020138
	buffer_load_dwordx4 a[76:79], v47, s[84:87], 0 offen offset:1024// 000000005A58: E05C1400 80954C2F
	buffer_load_dword v40, s[20:23], 0 offen lds               // 000000005A60: E0511000 80050028
	s_add_u32 m0, 0x100, s48                                   // 000000005A68: 807C30FF 00000100
	v_mfma_f32_16x16x32_fp8_fp8 v[12:15], a[58:59], a[2:3], v[12:15]// 000000005A70: D3F3000C 1C32053A
	v_mfma_f32_16x16x32_fp8_fp8 v[12:15], a[60:61], a[4:5], v[12:15]// 000000005A78: D3F3000C 1C32093C
	buffer_load_dword v41, s[20:23], 0 offen lds               // 000000005A80: E0511000 80050029
	s_add_u32 m0, 0x200, s48                                   // 000000005A88: 807C30FF 00000200
	v_mfma_f32_16x16x32_fp8_fp8 v[12:15], a[62:63], a[6:7], v[12:15]// 000000005A90: D3F3000C 1C320D3E
	v_fma_f32 v56, v8, v4, v56                                 // 000000005A98: D1CB0038 04E20908
	v_fma_f32 v57, v9, v4, v57                                 // 000000005AA0: D1CB0039 04E60909
	v_fma_f32 v58, v10, v4, v58                                // 000000005AA8: D1CB003A 04EA090A
	v_fma_f32 v59, v11, v4, v59                                // 000000005AB0: D1CB003B 04EE090B
	v_mul_f32_dpp v4, v24, v38 row_newbcast:0 row_mask:0xf bank_mask:0xf// 000000005AB8: 0A084CFA FF015018
	v_mfma_f32_16x16x32_fp8_fp8 v[8:11], a[56:57], a[8:9], 0   // 000000005AC0: D3F30008 1A021138
	buffer_load_dword v42, s[20:23], 0 offen lds               // 000000005AC8: E0511000 8005002A
	s_add_u32 m0, 0x300, s48                                   // 000000005AD0: 807C30FF 00000300
	v_mfma_f32_16x16x32_fp8_fp8 v[8:11], a[58:59], a[10:11], v[8:11]// 000000005AD8: D3F30008 1C22153A
	v_mfma_f32_16x16x32_fp8_fp8 v[8:11], a[60:61], a[12:13], v[8:11]// 000000005AE0: D3F30008 1C22193C
	buffer_load_dword v43, s[20:23], 0 offen lds               // 000000005AE8: E0511000 8005002B
	s_add_u32 m0, 0x400, s48                                   // 000000005AF0: 807C30FF 00000400
	v_mfma_f32_16x16x32_fp8_fp8 v[8:11], a[62:63], a[14:15], v[8:11]// 000000005AF8: D3F30008 1C221D3E
	v_fma_f32 v60, v12, v6, v60                                // 000000005B00: D1CB003C 04F20D0C
	v_fma_f32 v61, v13, v6, v61                                // 000000005B08: D1CB003D 04F60D0D
	v_fma_f32 v62, v14, v6, v62                                // 000000005B10: D1CB003E 04FA0D0E
	v_fma_f32 v63, v15, v6, v63                                // 000000005B18: D1CB003F 04FE0D0F
	v_mul_f32_dpp v6, v24, v39 row_newbcast:0 row_mask:0xf bank_mask:0xf// 000000005B20: 0A0C4EFA FF015018
	v_mfma_f32_16x16x32_fp8_fp8 v[12:15], a[56:57], a[16:17], 0// 000000005B28: D3F3000C 1A022138
	buffer_load_dword v44, s[20:23], 0 offen lds               // 000000005B30: E0511000 8005002C
	s_add_u32 m0, 0x500, s48                                   // 000000005B38: 807C30FF 00000500
	v_mfma_f32_16x16x32_fp8_fp8 v[12:15], a[58:59], a[18:19], v[12:15]// 000000005B40: D3F3000C 1C32253A
	s_add_u32 s60, 0x80, s80                                   // 000000005B48: 803C50FF 00000080
	s_cmp_lt_u32 s60, s81                                      // 000000005B50: BF0A513C
	s_cselect_b32 s83, s83, 0                                  // 000000005B54: 85538053
	s_cselect_b32 s4, s4, 0                                    // 000000005B58: 85048004
	v_mfma_f32_16x16x32_fp8_fp8 v[12:15], a[60:61], a[20:21], v[12:15]// 000000005B5C: D3F3000C 1C32293C
	buffer_load_dword v45, s[20:23], 0 offen lds               // 000000005B64: E0511000 8005002D
	s_add_u32 m0, 0, s49                                       // 000000005B6C: 807C3180
	s_add_u32 s32, s4, s32                                     // 000000005B70: 80202004
	s_addc_u32 s33, 0, s33                                     // 000000005B74: 82212180
	v_mfma_f32_16x16x32_fp8_fp8 v[12:15], a[62:63], a[22:23], v[12:15]// 000000005B78: D3F3000C 1C322D3E
	v_fma_f32 v64, v8, v4, v64                                 // 000000005B80: D1CB0040 05020908
	v_fma_f32 v65, v9, v4, v65                                 // 000000005B88: D1CB0041 05060909
	v_fma_f32 v66, v10, v4, v66                                // 000000005B90: D1CB0042 050A090A
	v_fma_f32 v67, v11, v4, v67                                // 000000005B98: D1CB0043 050E090B
	v_fma_f32 v68, v12, v6, v68                                // 000000005BA0: D1CB0044 05120D0C
	v_fma_f32 v69, v13, v6, v69                                // 000000005BA8: D1CB0045 05160D0D
	v_fma_f32 v70, v14, v6, v70                                // 000000005BB0: D1CB0046 051A0D0E
	v_fma_f32 v71, v15, v6, v71                                // 000000005BB8: D1CB0047 051E0D0F
	buffer_load_dword v31, v28, s[28:31], 0 offen              // 000000005BC0: E0501000 80071F1C
	buffer_load_dword v32, v29, s[28:31], 0 offen              // 000000005BC8: E0501000 8007201D
	buffer_load_dword v33, v30, s[28:31], 0 offen              // 000000005BD0: E0501000 8007211E
	s_waitcnt vmcnt(9)                                         // 000000005BD8: BF8C0F79
	v_mul_f32_dpp v4, v27, v37 row_newbcast:0 row_mask:0xf bank_mask:0xf// 000000005BDC: 0A084AFA FF01501B
	v_mfma_f32_16x16x32_fp8_fp8 v[8:11], a[64:65], a[0:1], 0   // 000000005BE4: D3F30008 1A020140
	buffer_load_dword v24, v22, s[32:35], 0 offen              // 000000005BEC: E0501000 80081816
	buffer_load_dwordx4 a[48:51], v46, s[24:27], 0 offen       // 000000005BF4: E05C1000 8086302E
	v_mfma_f32_16x16x32_fp8_fp8 v[8:11], a[66:67], a[2:3], v[8:11]// 000000005BFC: D3F30008 1C220542
	v_mfma_f32_16x16x32_fp8_fp8 v[8:11], a[68:69], a[4:5], v[8:11]// 000000005C04: D3F30008 1C220944
	ds_read_b128 a[24:27], v2 offset:6272                      // 000000005C0C: DBFE1880 18000002
	ds_read_b128 a[28:31], v2 offset:6336                      // 000000005C14: DBFE18C0 1C000002
	v_mfma_f32_16x16x32_fp8_fp8 v[8:11], a[70:71], a[6:7], v[8:11]// 000000005C1C: D3F30008 1C220D46
	v_mfma_f32_16x16x32_fp8_fp8 v[12:15], a[72:73], a[0:1], 0  // 000000005C24: D3F3000C 1A020148
	buffer_load_dwordx4 a[52:55], v46, s[24:27], 0 offen offset:1024// 000000005C2C: E05C1400 8086342E
	v_mfma_f32_16x16x32_fp8_fp8 v[12:15], a[74:75], a[2:3], v[12:15]// 000000005C34: D3F3000C 1C32054A
	v_mfma_f32_16x16x32_fp8_fp8 v[12:15], a[76:77], a[4:5], v[12:15]// 000000005C3C: D3F3000C 1C32094C
	ds_read_b128 a[32:35], v2 offset:6784                      // 000000005C44: DBFE1A80 20000002
	ds_read_b128 a[36:39], v2 offset:6848                      // 000000005C4C: DBFE1AC0 24000002
	v_mfma_f32_16x16x32_fp8_fp8 v[12:15], a[78:79], a[6:7], v[12:15]// 000000005C54: D3F3000C 1C320D4E
	v_fma_f32 v72, v8, v4, v72                                 // 000000005C5C: D1CB0048 05220908
	v_fma_f32 v73, v9, v4, v73                                 // 000000005C64: D1CB0049 05260909
	v_fma_f32 v74, v10, v4, v74                                // 000000005C6C: D1CB004A 052A090A
	v_fma_f32 v75, v11, v4, v75                                // 000000005C74: D1CB004B 052E090B
	v_mul_f32_dpp v6, v27, v38 row_newbcast:0 row_mask:0xf bank_mask:0xf// 000000005C7C: 0A0C4CFA FF01501B
	v_mfma_f32_16x16x32_fp8_fp8 v[8:11], a[64:65], a[8:9], 0   // 000000005C84: D3F30008 1A021140
	buffer_load_dwordx4 a[56:59], v47, s[24:27], 0 offen       // 000000005C8C: E05C1000 8086382F
	v_mfma_f32_16x16x32_fp8_fp8 v[8:11], a[66:67], a[10:11], v[8:11]// 000000005C94: D3F30008 1C221542
	v_mfma_f32_16x16x32_fp8_fp8 v[8:11], a[68:69], a[12:13], v[8:11]// 000000005C9C: D3F30008 1C221944
	ds_read_b128 a[40:43], v2 offset:7296                      // 000000005CA4: DBFE1C80 28000002
	ds_read_b128 a[44:47], v2 offset:7360                      // 000000005CAC: DBFE1CC0 2C000002
	v_mfma_f32_16x16x32_fp8_fp8 v[8:11], a[70:71], a[14:15], v[8:11]// 000000005CB4: D3F30008 1C221D46
	v_fma_f32 v84, v12, v4, v84                                // 000000005CBC: D1CB0054 0552090C
	v_fma_f32 v85, v13, v4, v85                                // 000000005CC4: D1CB0055 0556090D
	v_fma_f32 v86, v14, v4, v86                                // 000000005CCC: D1CB0056 055A090E
	v_fma_f32 v87, v15, v4, v87                                // 000000005CD4: D1CB0057 055E090F
	v_mfma_f32_16x16x32_fp8_fp8 v[12:15], a[72:73], a[8:9], 0  // 000000005CDC: D3F3000C 1A021148
	buffer_load_dwordx4 a[60:63], v47, s[24:27], 0 offen offset:1024// 000000005CE4: E05C1400 80863C2F
	v_mfma_f32_16x16x32_fp8_fp8 v[12:15], a[74:75], a[10:11], v[12:15]// 000000005CEC: D3F3000C 1C32154A
	v_mfma_f32_16x16x32_fp8_fp8 v[12:15], a[76:77], a[12:13], v[12:15]// 000000005CF4: D3F3000C 1C32194C
	v_mfma_f32_16x16x32_fp8_fp8 v[12:15], a[78:79], a[14:15], v[12:15]// 000000005CFC: D3F3000C 1C321D4E
	v_fma_f32 v76, v8, v6, v76                                 // 000000005D04: D1CB004C 05320D08
	v_fma_f32 v77, v9, v6, v77                                 // 000000005D0C: D1CB004D 05360D09
	v_fma_f32 v78, v10, v6, v78                                // 000000005D14: D1CB004E 053A0D0A
	v_fma_f32 v79, v11, v6, v79                                // 000000005D1C: D1CB004F 053E0D0B
	v_mul_f32_dpp v4, v27, v39 row_newbcast:0 row_mask:0xf bank_mask:0xf// 000000005D24: 0A084EFA FF01501B
	v_mfma_f32_16x16x32_fp8_fp8 v[8:11], a[64:65], a[16:17], 0 // 000000005D2C: D3F30008 1A022140
	v_mfma_f32_16x16x32_fp8_fp8 v[8:11], a[66:67], a[18:19], v[8:11]// 000000005D34: D3F30008 1C222542
	v_mfma_f32_16x16x32_fp8_fp8 v[8:11], a[68:69], a[20:21], v[8:11]// 000000005D3C: D3F30008 1C222944
	s_add_u32 s60, 0x180, s80                                  // 000000005D44: 803C50FF 00000180
	s_cmp_lt_u32 s60, s81                                      // 000000005D4C: BF0A513C
	s_cselect_b32 s57, s57, 0                                  // 000000005D50: 85398039
	s_cselect_b32 s3, s3, 0                                    // 000000005D54: 85038003
	v_mfma_f32_16x16x32_fp8_fp8 v[8:11], a[70:71], a[22:23], v[8:11]// 000000005D58: D3F30008 1C222D46
	s_add_u32 s60, 0x100, s80                                  // 000000005D60: 803C50FF 00000100
	s_cmp_lt_u32 s60, s81                                      // 000000005D68: BF0A513C
	s_cselect_b32 s58, s58, 0                                  // 000000005D6C: 853A803A
	v_fma_f32 v88, v12, v6, v88                                // 000000005D70: D1CB0058 05620D0C
	v_fma_f32 v89, v13, v6, v89                                // 000000005D78: D1CB0059 05660D0D
	v_fma_f32 v90, v14, v6, v90                                // 000000005D80: D1CB005A 056A0D0E
	v_fma_f32 v91, v15, v6, v91                                // 000000005D88: D1CB005B 056E0D0F
	v_mfma_f32_16x16x32_fp8_fp8 v[12:15], a[72:73], a[16:17], 0// 000000005D90: D3F3000C 1A022148
	s_add_u32 s24, s58, s24                                    // 000000005D98: 8018183A
	s_addc_u32 s25, 0, s25                                     // 000000005D9C: 82191980
	v_mfma_f32_16x16x32_fp8_fp8 v[12:15], a[74:75], a[18:19], v[12:15]// 000000005DA0: D3F3000C 1C32254A
	s_add_u32 s20, s57, s20                                    // 000000005DA8: 80141439
	s_addc_u32 s21, 0, s21                                     // 000000005DAC: 82151580
	s_add_u32 s28, s3, s28                                     // 000000005DB0: 801C1C03
	s_addc_u32 s29, 0, s29                                     // 000000005DB4: 821D1D80
	v_mfma_f32_16x16x32_fp8_fp8 v[12:15], a[76:77], a[20:21], v[12:15]// 000000005DB8: D3F3000C 1C32294C
	s_add_u32 s84, s83, s84                                    // 000000005DC0: 80545453
	s_addc_u32 s85, 0, s85                                     // 000000005DC4: 82555580
	v_mfma_f32_16x16x32_fp8_fp8 v[12:15], a[78:79], a[22:23], v[12:15]// 000000005DC8: D3F3000C 1C322D4E
	v_fma_f32 v80, v8, v4, v80                                 // 000000005DD0: D1CB0050 05420908
	v_fma_f32 v81, v9, v4, v81                                 // 000000005DD8: D1CB0051 05460909
	v_fma_f32 v82, v10, v4, v82                                // 000000005DE0: D1CB0052 054A090A
	v_fma_f32 v83, v11, v4, v83                                // 000000005DE8: D1CB0053 054E090B
	v_fma_f32 v92, v12, v4, v92                                // 000000005DF0: D1CB005C 0572090C
	v_fma_f32 v93, v13, v4, v93                                // 000000005DF8: D1CB005D 0576090D
	v_fma_f32 v94, v14, v4, v94                                // 000000005E00: D1CB005E 057A090E
	v_fma_f32 v95, v15, v4, v95                                // 000000005E08: D1CB005F 057E090F
	s_addk_i32 s80, 0x80                                       // 000000005E10: B7500080
	s_cmp_lt_i32 s80, s81                                      // 000000005E14: BF045150
	s_cbranch_scc0 label_0E3C                                  // 000000005E18: BF840132
	s_waitcnt vmcnt(2) lgkmcnt(0)                              // 000000005E1C: BF8C0072
	s_barrier                                                  // 000000005E20: BF8A0000
	v_mov_b32_e32 v37, v34                                     // 000000005E24: 7E4A0322
	v_mov_b32_e32 v38, v35                                     // 000000005E28: 7E4C0323
	v_mov_b32_e32 v39, v36                                     // 000000005E2C: 7E4E0324
	v_mul_f32_dpp v4, v24, v37 row_newbcast:0 row_mask:0xf bank_mask:0xf// 000000005E30: 0A084AFA FF015018
	v_mfma_f32_16x16x32_fp8_fp8 v[8:11], a[48:49], a[24:25], 0 // 000000005E38: D3F30008 1A023130
	buffer_load_dword v27, v23, s[32:35], 0 offen              // 000000005E40: E0501000 80081B17
	buffer_load_dwordx4 a[64:67], v46, s[84:87], 0 offen       // 000000005E48: E05C1000 8095402E
	v_mfma_f32_16x16x32_fp8_fp8 v[8:11], a[50:51], a[26:27], v[8:11]// 000000005E50: D3F30008 1C223532
	v_mfma_f32_16x16x32_fp8_fp8 v[8:11], a[52:53], a[28:29], v[8:11]// 000000005E58: D3F30008 1C223934
	v_mfma_f32_16x16x32_fp8_fp8 v[8:11], a[54:55], a[30:31], v[8:11]// 000000005E60: D3F30008 1C223D36
	v_mul_f32_dpp v6, v24, v38 row_newbcast:0 row_mask:0xf bank_mask:0xf// 000000005E68: 0A0C4CFA FF015018
	v_mfma_f32_16x16x32_fp8_fp8 v[12:15], a[48:49], a[32:33], 0// 000000005E70: D3F3000C 1A024130
	buffer_load_dwordx4 a[68:71], v46, s[84:87], 0 offen offset:1024// 000000005E78: E05C1400 8095442E
	v_mfma_f32_16x16x32_fp8_fp8 v[12:15], a[50:51], a[34:35], v[12:15]// 000000005E80: D3F3000C 1C324532
	v_mfma_f32_16x16x32_fp8_fp8 v[12:15], a[52:53], a[36:37], v[12:15]// 000000005E88: D3F3000C 1C324934
	v_mfma_f32_16x16x32_fp8_fp8 v[12:15], a[54:55], a[38:39], v[12:15]// 000000005E90: D3F3000C 1C324D36
	v_fma_f32 v48, v8, v4, v48                                 // 000000005E98: D1CB0030 04C20908
	v_fma_f32 v49, v9, v4, v49                                 // 000000005EA0: D1CB0031 04C60909
	v_fma_f32 v50, v10, v4, v50                                // 000000005EA8: D1CB0032 04CA090A
	v_fma_f32 v51, v11, v4, v51                                // 000000005EB0: D1CB0033 04CE090B
	v_mul_f32_dpp v4, v24, v39 row_newbcast:0 row_mask:0xf bank_mask:0xf// 000000005EB8: 0A084EFA FF015018
	v_mfma_f32_16x16x32_fp8_fp8 v[8:11], a[48:49], a[40:41], 0 // 000000005EC0: D3F30008 1A025130
	buffer_load_dwordx4 a[72:75], v47, s[84:87], 0 offen       // 000000005EC8: E05C1000 8095482F
	v_mfma_f32_16x16x32_fp8_fp8 v[8:11], a[50:51], a[42:43], v[8:11]// 000000005ED0: D3F30008 1C225532
	v_mfma_f32_16x16x32_fp8_fp8 v[8:11], a[52:53], a[44:45], v[8:11]// 000000005ED8: D3F30008 1C225934
	v_mfma_f32_16x16x32_fp8_fp8 v[8:11], a[54:55], a[46:47], v[8:11]// 000000005EE0: D3F30008 1C225D36
	v_fma_f32 v52, v12, v6, v52                                // 000000005EE8: D1CB0034 04D20D0C
	v_fma_f32 v53, v13, v6, v53                                // 000000005EF0: D1CB0035 04D60D0D
	v_fma_f32 v54, v14, v6, v54                                // 000000005EF8: D1CB0036 04DA0D0E
	v_fma_f32 v55, v15, v6, v55                                // 000000005F00: D1CB0037 04DE0D0F
	s_waitcnt vmcnt(4)                                         // 000000005F08: BF8C0F74
	v_mul_f32_dpp v6, v24, v37 row_newbcast:0 row_mask:0xf bank_mask:0xf// 000000005F0C: 0A0C4AFA FF015018
	v_mfma_f32_16x16x32_fp8_fp8 v[12:15], a[56:57], a[24:25], 0// 000000005F14: D3F3000C 1A023138
	buffer_load_dwordx4 a[76:79], v47, s[84:87], 0 offen offset:1024// 000000005F1C: E05C1400 80954C2F
	buffer_load_dword v40, s[20:23], 0 offen lds               // 000000005F24: E0511000 80050028
	s_add_u32 m0, 0x100, s49                                   // 000000005F2C: 807C31FF 00000100
	v_mfma_f32_16x16x32_fp8_fp8 v[12:15], a[58:59], a[26:27], v[12:15]// 000000005F34: D3F3000C 1C32353A
	v_mfma_f32_16x16x32_fp8_fp8 v[12:15], a[60:61], a[28:29], v[12:15]// 000000005F3C: D3F3000C 1C32393C
	buffer_load_dword v41, s[20:23], 0 offen lds               // 000000005F44: E0511000 80050029
	s_add_u32 m0, 0x200, s49                                   // 000000005F4C: 807C31FF 00000200
	v_mfma_f32_16x16x32_fp8_fp8 v[12:15], a[62:63], a[30:31], v[12:15]// 000000005F54: D3F3000C 1C323D3E
	v_fma_f32 v56, v8, v4, v56                                 // 000000005F5C: D1CB0038 04E20908
	v_fma_f32 v57, v9, v4, v57                                 // 000000005F64: D1CB0039 04E60909
	v_fma_f32 v58, v10, v4, v58                                // 000000005F6C: D1CB003A 04EA090A
	v_fma_f32 v59, v11, v4, v59                                // 000000005F74: D1CB003B 04EE090B
	v_mul_f32_dpp v4, v24, v38 row_newbcast:0 row_mask:0xf bank_mask:0xf// 000000005F7C: 0A084CFA FF015018
	v_mfma_f32_16x16x32_fp8_fp8 v[8:11], a[56:57], a[32:33], 0 // 000000005F84: D3F30008 1A024138
	buffer_load_dword v42, s[20:23], 0 offen lds               // 000000005F8C: E0511000 8005002A
	s_add_u32 m0, 0x300, s49                                   // 000000005F94: 807C31FF 00000300
	v_mfma_f32_16x16x32_fp8_fp8 v[8:11], a[58:59], a[34:35], v[8:11]// 000000005F9C: D3F30008 1C22453A
	v_mfma_f32_16x16x32_fp8_fp8 v[8:11], a[60:61], a[36:37], v[8:11]// 000000005FA4: D3F30008 1C22493C
	buffer_load_dword v43, s[20:23], 0 offen lds               // 000000005FAC: E0511000 8005002B
	s_add_u32 m0, 0x400, s49                                   // 000000005FB4: 807C31FF 00000400
	v_mfma_f32_16x16x32_fp8_fp8 v[8:11], a[62:63], a[38:39], v[8:11]// 000000005FBC: D3F30008 1C224D3E
	v_fma_f32 v60, v12, v6, v60                                // 000000005FC4: D1CB003C 04F20D0C
	v_fma_f32 v61, v13, v6, v61                                // 000000005FCC: D1CB003D 04F60D0D
	v_fma_f32 v62, v14, v6, v62                                // 000000005FD4: D1CB003E 04FA0D0E
	v_fma_f32 v63, v15, v6, v63                                // 000000005FDC: D1CB003F 04FE0D0F
	v_mul_f32_dpp v6, v24, v39 row_newbcast:0 row_mask:0xf bank_mask:0xf// 000000005FE4: 0A0C4EFA FF015018
	v_mfma_f32_16x16x32_fp8_fp8 v[12:15], a[56:57], a[40:41], 0// 000000005FEC: D3F3000C 1A025138
	buffer_load_dword v44, s[20:23], 0 offen lds               // 000000005FF4: E0511000 8005002C
	s_add_u32 m0, 0x500, s49                                   // 000000005FFC: 807C31FF 00000500
	v_mfma_f32_16x16x32_fp8_fp8 v[12:15], a[58:59], a[42:43], v[12:15]// 000000006004: D3F3000C 1C32553A
	s_add_u32 s60, 0x80, s80                                   // 00000000600C: 803C50FF 00000080
	s_cmp_lt_u32 s60, s81                                      // 000000006014: BF0A513C
	s_cselect_b32 s83, s83, 0                                  // 000000006018: 85538053
	s_cselect_b32 s4, s4, 0                                    // 00000000601C: 85048004
	v_mfma_f32_16x16x32_fp8_fp8 v[12:15], a[60:61], a[44:45], v[12:15]// 000000006020: D3F3000C 1C32593C
	buffer_load_dword v45, s[20:23], 0 offen lds               // 000000006028: E0511000 8005002D
	s_add_u32 m0, 0, s48                                       // 000000006030: 807C3080
	s_add_u32 s32, s4, s32                                     // 000000006034: 80202004
	s_addc_u32 s33, 0, s33                                     // 000000006038: 82212180
	v_mfma_f32_16x16x32_fp8_fp8 v[12:15], a[62:63], a[46:47], v[12:15]// 00000000603C: D3F3000C 1C325D3E
	v_fma_f32 v64, v8, v4, v64                                 // 000000006044: D1CB0040 05020908
	v_fma_f32 v65, v9, v4, v65                                 // 00000000604C: D1CB0041 05060909
	v_fma_f32 v66, v10, v4, v66                                // 000000006054: D1CB0042 050A090A
	v_fma_f32 v67, v11, v4, v67                                // 00000000605C: D1CB0043 050E090B
	v_fma_f32 v68, v12, v6, v68                                // 000000006064: D1CB0044 05120D0C
	v_fma_f32 v69, v13, v6, v69                                // 00000000606C: D1CB0045 05160D0D
	v_fma_f32 v70, v14, v6, v70                                // 000000006074: D1CB0046 051A0D0E
	v_fma_f32 v71, v15, v6, v71                                // 00000000607C: D1CB0047 051E0D0F
	buffer_load_dword v34, v28, s[28:31], 0 offen              // 000000006084: E0501000 8007221C
	buffer_load_dword v35, v29, s[28:31], 0 offen              // 00000000608C: E0501000 8007231D
	buffer_load_dword v36, v30, s[28:31], 0 offen              // 000000006094: E0501000 8007241E
	s_waitcnt vmcnt(9)                                         // 00000000609C: BF8C0F79
	v_mul_f32_dpp v4, v27, v37 row_newbcast:0 row_mask:0xf bank_mask:0xf// 0000000060A0: 0A084AFA FF01501B
	v_mfma_f32_16x16x32_fp8_fp8 v[8:11], a[64:65], a[24:25], 0 // 0000000060A8: D3F30008 1A023140
	buffer_load_dword v24, v22, s[32:35], 0 offen              // 0000000060B0: E0501000 80081816
	buffer_load_dwordx4 a[48:51], v46, s[24:27], 0 offen       // 0000000060B8: E05C1000 8086302E
	v_mfma_f32_16x16x32_fp8_fp8 v[8:11], a[66:67], a[26:27], v[8:11]// 0000000060C0: D3F30008 1C223542
	v_mfma_f32_16x16x32_fp8_fp8 v[8:11], a[68:69], a[28:29], v[8:11]// 0000000060C8: D3F30008 1C223944
	ds_read_b128 a[0:3], v2                                    // 0000000060D0: DBFE0000 00000002
	ds_read_b128 a[4:7], v2 offset:64                          // 0000000060D8: DBFE0040 04000002
	v_mfma_f32_16x16x32_fp8_fp8 v[8:11], a[70:71], a[30:31], v[8:11]// 0000000060E0: D3F30008 1C223D46
	v_mfma_f32_16x16x32_fp8_fp8 v[12:15], a[72:73], a[24:25], 0// 0000000060E8: D3F3000C 1A023148
	buffer_load_dwordx4 a[52:55], v46, s[24:27], 0 offen offset:1024// 0000000060F0: E05C1400 8086342E
	v_mfma_f32_16x16x32_fp8_fp8 v[12:15], a[74:75], a[26:27], v[12:15]// 0000000060F8: D3F3000C 1C32354A
	v_mfma_f32_16x16x32_fp8_fp8 v[12:15], a[76:77], a[28:29], v[12:15]// 000000006100: D3F3000C 1C32394C
	ds_read_b128 a[8:11], v2 offset:512                        // 000000006108: DBFE0200 08000002
	ds_read_b128 a[12:15], v2 offset:576                       // 000000006110: DBFE0240 0C000002
	v_mfma_f32_16x16x32_fp8_fp8 v[12:15], a[78:79], a[30:31], v[12:15]// 000000006118: D3F3000C 1C323D4E
	v_fma_f32 v72, v8, v4, v72                                 // 000000006120: D1CB0048 05220908
	v_fma_f32 v73, v9, v4, v73                                 // 000000006128: D1CB0049 05260909
	v_fma_f32 v74, v10, v4, v74                                // 000000006130: D1CB004A 052A090A
	v_fma_f32 v75, v11, v4, v75                                // 000000006138: D1CB004B 052E090B
	v_mul_f32_dpp v6, v27, v38 row_newbcast:0 row_mask:0xf bank_mask:0xf// 000000006140: 0A0C4CFA FF01501B
	v_mfma_f32_16x16x32_fp8_fp8 v[8:11], a[64:65], a[32:33], 0 // 000000006148: D3F30008 1A024140
	buffer_load_dwordx4 a[56:59], v47, s[24:27], 0 offen       // 000000006150: E05C1000 8086382F
	v_mfma_f32_16x16x32_fp8_fp8 v[8:11], a[66:67], a[34:35], v[8:11]// 000000006158: D3F30008 1C224542
	v_mfma_f32_16x16x32_fp8_fp8 v[8:11], a[68:69], a[36:37], v[8:11]// 000000006160: D3F30008 1C224944
	ds_read_b128 a[16:19], v2 offset:1024                      // 000000006168: DBFE0400 10000002
	ds_read_b128 a[20:23], v2 offset:1088                      // 000000006170: DBFE0440 14000002
	v_mfma_f32_16x16x32_fp8_fp8 v[8:11], a[70:71], a[38:39], v[8:11]// 000000006178: D3F30008 1C224D46
	v_fma_f32 v84, v12, v4, v84                                // 000000006180: D1CB0054 0552090C
	v_fma_f32 v85, v13, v4, v85                                // 000000006188: D1CB0055 0556090D
	v_fma_f32 v86, v14, v4, v86                                // 000000006190: D1CB0056 055A090E
	v_fma_f32 v87, v15, v4, v87                                // 000000006198: D1CB0057 055E090F
	v_mfma_f32_16x16x32_fp8_fp8 v[12:15], a[72:73], a[32:33], 0// 0000000061A0: D3F3000C 1A024148
	buffer_load_dwordx4 a[60:63], v47, s[24:27], 0 offen offset:1024// 0000000061A8: E05C1400 80863C2F
	v_mfma_f32_16x16x32_fp8_fp8 v[12:15], a[74:75], a[34:35], v[12:15]// 0000000061B0: D3F3000C 1C32454A
	v_mfma_f32_16x16x32_fp8_fp8 v[12:15], a[76:77], a[36:37], v[12:15]// 0000000061B8: D3F3000C 1C32494C
	v_mfma_f32_16x16x32_fp8_fp8 v[12:15], a[78:79], a[38:39], v[12:15]// 0000000061C0: D3F3000C 1C324D4E
	v_fma_f32 v76, v8, v6, v76                                 // 0000000061C8: D1CB004C 05320D08
	v_fma_f32 v77, v9, v6, v77                                 // 0000000061D0: D1CB004D 05360D09
	v_fma_f32 v78, v10, v6, v78                                // 0000000061D8: D1CB004E 053A0D0A
	v_fma_f32 v79, v11, v6, v79                                // 0000000061E0: D1CB004F 053E0D0B
	v_mul_f32_dpp v4, v27, v39 row_newbcast:0 row_mask:0xf bank_mask:0xf// 0000000061E8: 0A084EFA FF01501B
	v_mfma_f32_16x16x32_fp8_fp8 v[8:11], a[64:65], a[40:41], 0 // 0000000061F0: D3F30008 1A025140
	v_mfma_f32_16x16x32_fp8_fp8 v[8:11], a[66:67], a[42:43], v[8:11]// 0000000061F8: D3F30008 1C225542
	v_mfma_f32_16x16x32_fp8_fp8 v[8:11], a[68:69], a[44:45], v[8:11]// 000000006200: D3F30008 1C225944
	s_add_u32 s60, 0x180, s80                                  // 000000006208: 803C50FF 00000180
	s_cmp_lt_u32 s60, s81                                      // 000000006210: BF0A513C
	s_cselect_b32 s57, s57, 0                                  // 000000006214: 85398039
	s_cselect_b32 s3, s3, 0                                    // 000000006218: 85038003
	v_mfma_f32_16x16x32_fp8_fp8 v[8:11], a[70:71], a[46:47], v[8:11]// 00000000621C: D3F30008 1C225D46
	s_add_u32 s60, 0x100, s80                                  // 000000006224: 803C50FF 00000100
	s_cmp_lt_u32 s60, s81                                      // 00000000622C: BF0A513C
	s_cselect_b32 s58, s58, 0                                  // 000000006230: 853A803A
	v_fma_f32 v88, v12, v6, v88                                // 000000006234: D1CB0058 05620D0C
	v_fma_f32 v89, v13, v6, v89                                // 00000000623C: D1CB0059 05660D0D
	v_fma_f32 v90, v14, v6, v90                                // 000000006244: D1CB005A 056A0D0E
	v_fma_f32 v91, v15, v6, v91                                // 00000000624C: D1CB005B 056E0D0F
	v_mfma_f32_16x16x32_fp8_fp8 v[12:15], a[72:73], a[40:41], 0// 000000006254: D3F3000C 1A025148
	s_add_u32 s24, s58, s24                                    // 00000000625C: 8018183A
	s_addc_u32 s25, 0, s25                                     // 000000006260: 82191980
	v_mfma_f32_16x16x32_fp8_fp8 v[12:15], a[74:75], a[42:43], v[12:15]// 000000006264: D3F3000C 1C32554A
	s_add_u32 s20, s57, s20                                    // 00000000626C: 80141439
	s_addc_u32 s21, 0, s21                                     // 000000006270: 82151580
	s_add_u32 s28, s3, s28                                     // 000000006274: 801C1C03
	s_addc_u32 s29, 0, s29                                     // 000000006278: 821D1D80
	v_mfma_f32_16x16x32_fp8_fp8 v[12:15], a[76:77], a[44:45], v[12:15]// 00000000627C: D3F3000C 1C32594C
	s_add_u32 s84, s83, s84                                    // 000000006284: 80545453
	s_addc_u32 s85, 0, s85                                     // 000000006288: 82555580
	v_mfma_f32_16x16x32_fp8_fp8 v[12:15], a[78:79], a[46:47], v[12:15]// 00000000628C: D3F3000C 1C325D4E
	v_fma_f32 v80, v8, v4, v80                                 // 000000006294: D1CB0050 05420908
	v_fma_f32 v81, v9, v4, v81                                 // 00000000629C: D1CB0051 05460909
	v_fma_f32 v82, v10, v4, v82                                // 0000000062A4: D1CB0052 054A090A
	v_fma_f32 v83, v11, v4, v83                                // 0000000062AC: D1CB0053 054E090B
	v_fma_f32 v92, v12, v4, v92                                // 0000000062B4: D1CB005C 0572090C
	v_fma_f32 v93, v13, v4, v93                                // 0000000062BC: D1CB005D 0576090D
	v_fma_f32 v94, v14, v4, v94                                // 0000000062C4: D1CB005E 057A090E
	v_fma_f32 v95, v15, v4, v95                                // 0000000062CC: D1CB005F 057E090F
	s_addk_i32 s80, 0x80                                       // 0000000062D4: B7500080
	s_cmp_lt_i32 s80, s81                                      // 0000000062D8: BF045150
	s_cbranch_scc0 label_0E3C                                  // 0000000062DC: BF840001
	s_branch label_0BD9                                        // 0000000062E0: BF82FD9D

00000000000062e4 <label_0E3C>:
	s_cmp_eq_u32 s88, 0                                        // 0000000062E4: BF068058
	s_cbranch_scc0 label_1270                                  // 0000000062E8: BF840432
	s_cmp_eq_u32 s89, 0                                        // 0000000062EC: BF068059
	s_cbranch_scc1 label_0F35                                  // 0000000062F0: BF8500F5
	v_mov_b32_e32 v8, v1                                       // 0000000062F4: 7E100301
	v_mov_b32_e32 v9, v1                                       // 0000000062F8: 7E120301
	s_mov_b32 s60, s6                                          // 0000000062FC: BEBC0006
	s_mov_b32 s61, s6                                          // 000000006300: BEBD0006
	v_pk_mul_f32 v[4:5], v[48:49], v[48:49]                    // 000000006304: D3B14004 18026130
	v_pk_mul_f32 v[6:7], v[50:51], v[50:51]                    // 00000000630C: D3B14006 18026532
	v_pk_fma_f32 v[4:5], v[4:5], s[78:79], v[8:9]              // 000000006314: D3B04004 1C209D04
	v_pk_fma_f32 v[6:7], v[6:7], s[78:79], v[8:9]              // 00000000631C: D3B04006 1C209D06
	v_pk_mul_f32 v[4:5], v[4:5], v[48:49]                      // 000000006324: D3B14004 18026104
	v_pk_mul_f32 v[6:7], v[6:7], v[50:51]                      // 00000000632C: D3B14006 18026506
	v_pk_mul_f32 v[4:5], v[4:5], s[60:61]                      // 000000006334: D3B14004 18007904
	v_pk_mul_f32 v[6:7], v[6:7], s[60:61]                      // 00000000633C: D3B14006 18007906
	v_exp_f32_e32 v4, v4                                       // 000000006344: 7E084104
	v_exp_f32_e32 v5, v5                                       // 000000006348: 7E0A4105
	v_exp_f32_e32 v6, v6                                       // 00000000634C: 7E0C4106
	v_exp_f32_e32 v7, v7                                       // 000000006350: 7E0E4107
	v_add_f32_e64 v4, v4, 1.0                                  // 000000006354: D1010004 0001E504
	v_add_f32_e64 v5, v5, 1.0                                  // 00000000635C: D1010005 0001E505
	v_add_f32_e64 v6, v6, 1.0                                  // 000000006364: D1010006 0001E506
	v_add_f32_e64 v7, v7, 1.0                                  // 00000000636C: D1010007 0001E507
	v_rcp_f32_e32 v4, v4                                       // 000000006374: 7E084504
	v_rcp_f32_e32 v5, v5                                       // 000000006378: 7E0A4505
	v_rcp_f32_e32 v6, v6                                       // 00000000637C: 7E0C4506
	v_rcp_f32_e32 v7, v7                                       // 000000006380: 7E0E4507
	v_mul_f32_e32 v48, v48, v4                                 // 000000006384: 0A600930
	v_mul_f32_e32 v49, v49, v5                                 // 000000006388: 0A620B31
	v_mul_f32_e32 v50, v50, v6                                 // 00000000638C: 0A640D32
	v_mul_f32_e32 v51, v51, v7                                 // 000000006390: 0A660F33
	v_mul_f32_e32 v48, v48, v72                                // 000000006394: 0A609130
	v_mul_f32_e32 v49, v49, v73                                // 000000006398: 0A629331
	v_mul_f32_e32 v50, v50, v74                                // 00000000639C: 0A649532
	v_mul_f32_e32 v51, v51, v75                                // 0000000063A0: 0A669733
	v_pk_mul_f32 v[4:5], v[52:53], v[52:53]                    // 0000000063A4: D3B14004 18026934
	v_pk_mul_f32 v[6:7], v[54:55], v[54:55]                    // 0000000063AC: D3B14006 18026D36
	v_pk_fma_f32 v[4:5], v[4:5], s[78:79], v[8:9]              // 0000000063B4: D3B04004 1C209D04
	v_pk_fma_f32 v[6:7], v[6:7], s[78:79], v[8:9]              // 0000000063BC: D3B04006 1C209D06
	v_pk_mul_f32 v[4:5], v[4:5], v[52:53]                      // 0000000063C4: D3B14004 18026904
	v_pk_mul_f32 v[6:7], v[6:7], v[54:55]                      // 0000000063CC: D3B14006 18026D06
	v_pk_mul_f32 v[4:5], v[4:5], s[60:61]                      // 0000000063D4: D3B14004 18007904
	v_pk_mul_f32 v[6:7], v[6:7], s[60:61]                      // 0000000063DC: D3B14006 18007906
	v_exp_f32_e32 v4, v4                                       // 0000000063E4: 7E084104
	v_exp_f32_e32 v5, v5                                       // 0000000063E8: 7E0A4105
	v_exp_f32_e32 v6, v6                                       // 0000000063EC: 7E0C4106
	v_exp_f32_e32 v7, v7                                       // 0000000063F0: 7E0E4107
	v_add_f32_e64 v4, v4, 1.0                                  // 0000000063F4: D1010004 0001E504
	v_add_f32_e64 v5, v5, 1.0                                  // 0000000063FC: D1010005 0001E505
	v_add_f32_e64 v6, v6, 1.0                                  // 000000006404: D1010006 0001E506
	v_add_f32_e64 v7, v7, 1.0                                  // 00000000640C: D1010007 0001E507
	v_rcp_f32_e32 v4, v4                                       // 000000006414: 7E084504
	v_rcp_f32_e32 v5, v5                                       // 000000006418: 7E0A4505
	v_rcp_f32_e32 v6, v6                                       // 00000000641C: 7E0C4506
	v_rcp_f32_e32 v7, v7                                       // 000000006420: 7E0E4507
	v_mul_f32_e32 v52, v52, v4                                 // 000000006424: 0A680934
	v_mul_f32_e32 v53, v53, v5                                 // 000000006428: 0A6A0B35
	v_mul_f32_e32 v54, v54, v6                                 // 00000000642C: 0A6C0D36
	v_mul_f32_e32 v55, v55, v7                                 // 000000006430: 0A6E0F37
	v_mul_f32_e32 v52, v52, v76                                // 000000006434: 0A689934
	v_mul_f32_e32 v53, v53, v77                                // 000000006438: 0A6A9B35
	v_mul_f32_e32 v54, v54, v78                                // 00000000643C: 0A6C9D36
	v_mul_f32_e32 v55, v55, v79                                // 000000006440: 0A6E9F37
	v_pk_mul_f32 v[4:5], v[56:57], v[56:57]                    // 000000006444: D3B14004 18027138
	v_pk_mul_f32 v[6:7], v[58:59], v[58:59]                    // 00000000644C: D3B14006 1802753A
	v_pk_fma_f32 v[4:5], v[4:5], s[78:79], v[8:9]              // 000000006454: D3B04004 1C209D04
	v_pk_fma_f32 v[6:7], v[6:7], s[78:79], v[8:9]              // 00000000645C: D3B04006 1C209D06
	v_pk_mul_f32 v[4:5], v[4:5], v[56:57]                      // 000000006464: D3B14004 18027104
	v_pk_mul_f32 v[6:7], v[6:7], v[58:59]                      // 00000000646C: D3B14006 18027506
	v_pk_mul_f32 v[4:5], v[4:5], s[60:61]                      // 000000006474: D3B14004 18007904
	v_pk_mul_f32 v[6:7], v[6:7], s[60:61]                      // 00000000647C: D3B14006 18007906
	v_exp_f32_e32 v4, v4                                       // 000000006484: 7E084104
	v_exp_f32_e32 v5, v5                                       // 000000006488: 7E0A4105
	v_exp_f32_e32 v6, v6                                       // 00000000648C: 7E0C4106
	v_exp_f32_e32 v7, v7                                       // 000000006490: 7E0E4107
	v_add_f32_e64 v4, v4, 1.0                                  // 000000006494: D1010004 0001E504
	v_add_f32_e64 v5, v5, 1.0                                  // 00000000649C: D1010005 0001E505
	v_add_f32_e64 v6, v6, 1.0                                  // 0000000064A4: D1010006 0001E506
	v_add_f32_e64 v7, v7, 1.0                                  // 0000000064AC: D1010007 0001E507
	v_rcp_f32_e32 v4, v4                                       // 0000000064B4: 7E084504
	v_rcp_f32_e32 v5, v5                                       // 0000000064B8: 7E0A4505
	v_rcp_f32_e32 v6, v6                                       // 0000000064BC: 7E0C4506
	v_rcp_f32_e32 v7, v7                                       // 0000000064C0: 7E0E4507
	v_mul_f32_e32 v56, v56, v4                                 // 0000000064C4: 0A700938
	v_mul_f32_e32 v57, v57, v5                                 // 0000000064C8: 0A720B39
	v_mul_f32_e32 v58, v58, v6                                 // 0000000064CC: 0A740D3A
	v_mul_f32_e32 v59, v59, v7                                 // 0000000064D0: 0A760F3B
	v_mul_f32_e32 v56, v56, v80                                // 0000000064D4: 0A70A138
	v_mul_f32_e32 v57, v57, v81                                // 0000000064D8: 0A72A339
	v_mul_f32_e32 v58, v58, v82                                // 0000000064DC: 0A74A53A
	v_mul_f32_e32 v59, v59, v83                                // 0000000064E0: 0A76A73B
	v_pk_mul_f32 v[4:5], v[60:61], v[60:61]                    // 0000000064E4: D3B14004 1802793C
	v_pk_mul_f32 v[6:7], v[62:63], v[62:63]                    // 0000000064EC: D3B14006 18027D3E
	v_pk_fma_f32 v[4:5], v[4:5], s[78:79], v[8:9]              // 0000000064F4: D3B04004 1C209D04
	v_pk_fma_f32 v[6:7], v[6:7], s[78:79], v[8:9]              // 0000000064FC: D3B04006 1C209D06
	v_pk_mul_f32 v[4:5], v[4:5], v[60:61]                      // 000000006504: D3B14004 18027904
	v_pk_mul_f32 v[6:7], v[6:7], v[62:63]                      // 00000000650C: D3B14006 18027D06
	v_pk_mul_f32 v[4:5], v[4:5], s[60:61]                      // 000000006514: D3B14004 18007904
	v_pk_mul_f32 v[6:7], v[6:7], s[60:61]                      // 00000000651C: D3B14006 18007906
	v_exp_f32_e32 v4, v4                                       // 000000006524: 7E084104
	v_exp_f32_e32 v5, v5                                       // 000000006528: 7E0A4105
	v_exp_f32_e32 v6, v6                                       // 00000000652C: 7E0C4106
	v_exp_f32_e32 v7, v7                                       // 000000006530: 7E0E4107
	v_add_f32_e64 v4, v4, 1.0                                  // 000000006534: D1010004 0001E504
	v_add_f32_e64 v5, v5, 1.0                                  // 00000000653C: D1010005 0001E505
	v_add_f32_e64 v6, v6, 1.0                                  // 000000006544: D1010006 0001E506
	v_add_f32_e64 v7, v7, 1.0                                  // 00000000654C: D1010007 0001E507
	v_rcp_f32_e32 v4, v4                                       // 000000006554: 7E084504
	v_rcp_f32_e32 v5, v5                                       // 000000006558: 7E0A4505
	v_rcp_f32_e32 v6, v6                                       // 00000000655C: 7E0C4506
	v_rcp_f32_e32 v7, v7                                       // 000000006560: 7E0E4507
	v_mul_f32_e32 v60, v60, v4                                 // 000000006564: 0A78093C
	v_mul_f32_e32 v61, v61, v5                                 // 000000006568: 0A7A0B3D
	v_mul_f32_e32 v62, v62, v6                                 // 00000000656C: 0A7C0D3E
	v_mul_f32_e32 v63, v63, v7                                 // 000000006570: 0A7E0F3F
	v_mul_f32_e32 v60, v60, v84                                // 000000006574: 0A78A93C
	v_mul_f32_e32 v61, v61, v85                                // 000000006578: 0A7AAB3D
	v_mul_f32_e32 v62, v62, v86                                // 00000000657C: 0A7CAD3E
	v_mul_f32_e32 v63, v63, v87                                // 000000006580: 0A7EAF3F
	v_pk_mul_f32 v[4:5], v[64:65], v[64:65]                    // 000000006584: D3B14004 18028140
	v_pk_mul_f32 v[6:7], v[66:67], v[66:67]                    // 00000000658C: D3B14006 18028542
	v_pk_fma_f32 v[4:5], v[4:5], s[78:79], v[8:9]              // 000000006594: D3B04004 1C209D04
	v_pk_fma_f32 v[6:7], v[6:7], s[78:79], v[8:9]              // 00000000659C: D3B04006 1C209D06
	v_pk_mul_f32 v[4:5], v[4:5], v[64:65]                      // 0000000065A4: D3B14004 18028104
	v_pk_mul_f32 v[6:7], v[6:7], v[66:67]                      // 0000000065AC: D3B14006 18028506
	v_pk_mul_f32 v[4:5], v[4:5], s[60:61]                      // 0000000065B4: D3B14004 18007904
	v_pk_mul_f32 v[6:7], v[6:7], s[60:61]                      // 0000000065BC: D3B14006 18007906
	v_exp_f32_e32 v4, v4                                       // 0000000065C4: 7E084104
	v_exp_f32_e32 v5, v5                                       // 0000000065C8: 7E0A4105
	v_exp_f32_e32 v6, v6                                       // 0000000065CC: 7E0C4106
	v_exp_f32_e32 v7, v7                                       // 0000000065D0: 7E0E4107
	v_add_f32_e64 v4, v4, 1.0                                  // 0000000065D4: D1010004 0001E504
	v_add_f32_e64 v5, v5, 1.0                                  // 0000000065DC: D1010005 0001E505
	v_add_f32_e64 v6, v6, 1.0                                  // 0000000065E4: D1010006 0001E506
	v_add_f32_e64 v7, v7, 1.0                                  // 0000000065EC: D1010007 0001E507
	v_rcp_f32_e32 v4, v4                                       // 0000000065F4: 7E084504
	v_rcp_f32_e32 v5, v5                                       // 0000000065F8: 7E0A4505
	v_rcp_f32_e32 v6, v6                                       // 0000000065FC: 7E0C4506
	v_rcp_f32_e32 v7, v7                                       // 000000006600: 7E0E4507
	v_mul_f32_e32 v64, v64, v4                                 // 000000006604: 0A800940
	v_mul_f32_e32 v65, v65, v5                                 // 000000006608: 0A820B41
	v_mul_f32_e32 v66, v66, v6                                 // 00000000660C: 0A840D42
	v_mul_f32_e32 v67, v67, v7                                 // 000000006610: 0A860F43
	v_mul_f32_e32 v64, v64, v88                                // 000000006614: 0A80B140
	v_mul_f32_e32 v65, v65, v89                                // 000000006618: 0A82B341
	v_mul_f32_e32 v66, v66, v90                                // 00000000661C: 0A84B542
	v_mul_f32_e32 v67, v67, v91                                // 000000006620: 0A86B743
	v_pk_mul_f32 v[4:5], v[68:69], v[68:69]                    // 000000006624: D3B14004 18028944
	v_pk_mul_f32 v[6:7], v[70:71], v[70:71]                    // 00000000662C: D3B14006 18028D46
	v_pk_fma_f32 v[4:5], v[4:5], s[78:79], v[8:9]              // 000000006634: D3B04004 1C209D04
	v_pk_fma_f32 v[6:7], v[6:7], s[78:79], v[8:9]              // 00000000663C: D3B04006 1C209D06
	v_pk_mul_f32 v[4:5], v[4:5], v[68:69]                      // 000000006644: D3B14004 18028904
	v_pk_mul_f32 v[6:7], v[6:7], v[70:71]                      // 00000000664C: D3B14006 18028D06
	v_pk_mul_f32 v[4:5], v[4:5], s[60:61]                      // 000000006654: D3B14004 18007904
	v_pk_mul_f32 v[6:7], v[6:7], s[60:61]                      // 00000000665C: D3B14006 18007906
	v_exp_f32_e32 v4, v4                                       // 000000006664: 7E084104
	v_exp_f32_e32 v5, v5                                       // 000000006668: 7E0A4105
	v_exp_f32_e32 v6, v6                                       // 00000000666C: 7E0C4106
	v_exp_f32_e32 v7, v7                                       // 000000006670: 7E0E4107
	v_add_f32_e64 v4, v4, 1.0                                  // 000000006674: D1010004 0001E504
	v_add_f32_e64 v5, v5, 1.0                                  // 00000000667C: D1010005 0001E505
	v_add_f32_e64 v6, v6, 1.0                                  // 000000006684: D1010006 0001E506
	v_add_f32_e64 v7, v7, 1.0                                  // 00000000668C: D1010007 0001E507
	v_rcp_f32_e32 v4, v4                                       // 000000006694: 7E084504
	v_rcp_f32_e32 v5, v5                                       // 000000006698: 7E0A4505
	v_rcp_f32_e32 v6, v6                                       // 00000000669C: 7E0C4506
	v_rcp_f32_e32 v7, v7                                       // 0000000066A0: 7E0E4507
	v_mul_f32_e32 v68, v68, v4                                 // 0000000066A4: 0A880944
	v_mul_f32_e32 v69, v69, v5                                 // 0000000066A8: 0A8A0B45
	v_mul_f32_e32 v70, v70, v6                                 // 0000000066AC: 0A8C0D46
	v_mul_f32_e32 v71, v71, v7                                 // 0000000066B0: 0A8E0F47
	v_mul_f32_e32 v68, v68, v92                                // 0000000066B4: 0A88B944
	v_mul_f32_e32 v69, v69, v93                                // 0000000066B8: 0A8ABB45
	v_mul_f32_e32 v70, v70, v94                                // 0000000066BC: 0A8CBD46
	v_mul_f32_e32 v71, v71, v95                                // 0000000066C0: 0A8EBF47
	s_branch label_0FF5                                        // 0000000066C4: BF8200C0

00000000000066c8 <label_0F35>:
	v_mul_f32_e64 v4, -v48, s6                                 // 0000000066C8: D1050004 20000D30
	v_mul_f32_e64 v5, -v49, s6                                 // 0000000066D0: D1050005 20000D31
	v_mul_f32_e64 v6, -v50, s6                                 // 0000000066D8: D1050006 20000D32
	v_mul_f32_e64 v7, -v51, s6                                 // 0000000066E0: D1050007 20000D33
	v_exp_f32_e32 v4, v4                                       // 0000000066E8: 7E084104
	v_exp_f32_e32 v5, v5                                       // 0000000066EC: 7E0A4105
	v_exp_f32_e32 v6, v6                                       // 0000000066F0: 7E0C4106
	v_exp_f32_e32 v7, v7                                       // 0000000066F4: 7E0E4107
	v_add_f32_e64 v4, v4, 1.0                                  // 0000000066F8: D1010004 0001E504
	v_add_f32_e64 v5, v5, 1.0                                  // 000000006700: D1010005 0001E505
	v_add_f32_e64 v6, v6, 1.0                                  // 000000006708: D1010006 0001E506
	v_add_f32_e64 v7, v7, 1.0                                  // 000000006710: D1010007 0001E507
	v_rcp_f32_e32 v4, v4                                       // 000000006718: 7E084504
	v_rcp_f32_e32 v5, v5                                       // 00000000671C: 7E0A4505
	v_rcp_f32_e32 v6, v6                                       // 000000006720: 7E0C4506
	v_rcp_f32_e32 v7, v7                                       // 000000006724: 7E0E4507
	v_mul_f32_e32 v48, v48, v4                                 // 000000006728: 0A600930
	v_mul_f32_e32 v49, v49, v5                                 // 00000000672C: 0A620B31
	v_mul_f32_e32 v50, v50, v6                                 // 000000006730: 0A640D32
	v_mul_f32_e32 v51, v51, v7                                 // 000000006734: 0A660F33
	v_mul_f32_e32 v48, v48, v72                                // 000000006738: 0A609130
	v_mul_f32_e32 v49, v49, v73                                // 00000000673C: 0A629331
	v_mul_f32_e32 v50, v50, v74                                // 000000006740: 0A649532
	v_mul_f32_e32 v51, v51, v75                                // 000000006744: 0A669733
	v_mul_f32_e64 v4, -v52, s6                                 // 000000006748: D1050004 20000D34
	v_mul_f32_e64 v5, -v53, s6                                 // 000000006750: D1050005 20000D35
	v_mul_f32_e64 v6, -v54, s6                                 // 000000006758: D1050006 20000D36
	v_mul_f32_e64 v7, -v55, s6                                 // 000000006760: D1050007 20000D37
	v_exp_f32_e32 v4, v4                                       // 000000006768: 7E084104
	v_exp_f32_e32 v5, v5                                       // 00000000676C: 7E0A4105
	v_exp_f32_e32 v6, v6                                       // 000000006770: 7E0C4106
	v_exp_f32_e32 v7, v7                                       // 000000006774: 7E0E4107
	v_add_f32_e64 v4, v4, 1.0                                  // 000000006778: D1010004 0001E504
	v_add_f32_e64 v5, v5, 1.0                                  // 000000006780: D1010005 0001E505
	v_add_f32_e64 v6, v6, 1.0                                  // 000000006788: D1010006 0001E506
	v_add_f32_e64 v7, v7, 1.0                                  // 000000006790: D1010007 0001E507
	v_rcp_f32_e32 v4, v4                                       // 000000006798: 7E084504
	v_rcp_f32_e32 v5, v5                                       // 00000000679C: 7E0A4505
	v_rcp_f32_e32 v6, v6                                       // 0000000067A0: 7E0C4506
	v_rcp_f32_e32 v7, v7                                       // 0000000067A4: 7E0E4507
	v_mul_f32_e32 v52, v52, v4                                 // 0000000067A8: 0A680934
	v_mul_f32_e32 v53, v53, v5                                 // 0000000067AC: 0A6A0B35
	v_mul_f32_e32 v54, v54, v6                                 // 0000000067B0: 0A6C0D36
	v_mul_f32_e32 v55, v55, v7                                 // 0000000067B4: 0A6E0F37
	v_mul_f32_e32 v52, v52, v76                                // 0000000067B8: 0A689934
	v_mul_f32_e32 v53, v53, v77                                // 0000000067BC: 0A6A9B35
	v_mul_f32_e32 v54, v54, v78                                // 0000000067C0: 0A6C9D36
	v_mul_f32_e32 v55, v55, v79                                // 0000000067C4: 0A6E9F37
	v_mul_f32_e64 v4, -v56, s6                                 // 0000000067C8: D1050004 20000D38
	v_mul_f32_e64 v5, -v57, s6                                 // 0000000067D0: D1050005 20000D39
	v_mul_f32_e64 v6, -v58, s6                                 // 0000000067D8: D1050006 20000D3A
	v_mul_f32_e64 v7, -v59, s6                                 // 0000000067E0: D1050007 20000D3B
	v_exp_f32_e32 v4, v4                                       // 0000000067E8: 7E084104
	v_exp_f32_e32 v5, v5                                       // 0000000067EC: 7E0A4105
	v_exp_f32_e32 v6, v6                                       // 0000000067F0: 7E0C4106
	v_exp_f32_e32 v7, v7                                       // 0000000067F4: 7E0E4107
	v_add_f32_e64 v4, v4, 1.0                                  // 0000000067F8: D1010004 0001E504
	v_add_f32_e64 v5, v5, 1.0                                  // 000000006800: D1010005 0001E505
	v_add_f32_e64 v6, v6, 1.0                                  // 000000006808: D1010006 0001E506
	v_add_f32_e64 v7, v7, 1.0                                  // 000000006810: D1010007 0001E507
	v_rcp_f32_e32 v4, v4                                       // 000000006818: 7E084504
	v_rcp_f32_e32 v5, v5                                       // 00000000681C: 7E0A4505
	v_rcp_f32_e32 v6, v6                                       // 000000006820: 7E0C4506
	v_rcp_f32_e32 v7, v7                                       // 000000006824: 7E0E4507
	v_mul_f32_e32 v56, v56, v4                                 // 000000006828: 0A700938
	v_mul_f32_e32 v57, v57, v5                                 // 00000000682C: 0A720B39
	v_mul_f32_e32 v58, v58, v6                                 // 000000006830: 0A740D3A
	v_mul_f32_e32 v59, v59, v7                                 // 000000006834: 0A760F3B
	v_mul_f32_e32 v56, v56, v80                                // 000000006838: 0A70A138
	v_mul_f32_e32 v57, v57, v81                                // 00000000683C: 0A72A339
	v_mul_f32_e32 v58, v58, v82                                // 000000006840: 0A74A53A
	v_mul_f32_e32 v59, v59, v83                                // 000000006844: 0A76A73B
	v_mul_f32_e64 v4, -v60, s6                                 // 000000006848: D1050004 20000D3C
	v_mul_f32_e64 v5, -v61, s6                                 // 000000006850: D1050005 20000D3D
	v_mul_f32_e64 v6, -v62, s6                                 // 000000006858: D1050006 20000D3E
	v_mul_f32_e64 v7, -v63, s6                                 // 000000006860: D1050007 20000D3F
	v_exp_f32_e32 v4, v4                                       // 000000006868: 7E084104
	v_exp_f32_e32 v5, v5                                       // 00000000686C: 7E0A4105
	v_exp_f32_e32 v6, v6                                       // 000000006870: 7E0C4106
	v_exp_f32_e32 v7, v7                                       // 000000006874: 7E0E4107
	v_add_f32_e64 v4, v4, 1.0                                  // 000000006878: D1010004 0001E504
	v_add_f32_e64 v5, v5, 1.0                                  // 000000006880: D1010005 0001E505
	v_add_f32_e64 v6, v6, 1.0                                  // 000000006888: D1010006 0001E506
	v_add_f32_e64 v7, v7, 1.0                                  // 000000006890: D1010007 0001E507
	v_rcp_f32_e32 v4, v4                                       // 000000006898: 7E084504
	v_rcp_f32_e32 v5, v5                                       // 00000000689C: 7E0A4505
	v_rcp_f32_e32 v6, v6                                       // 0000000068A0: 7E0C4506
	v_rcp_f32_e32 v7, v7                                       // 0000000068A4: 7E0E4507
	v_mul_f32_e32 v60, v60, v4                                 // 0000000068A8: 0A78093C
	v_mul_f32_e32 v61, v61, v5                                 // 0000000068AC: 0A7A0B3D
	v_mul_f32_e32 v62, v62, v6                                 // 0000000068B0: 0A7C0D3E
	v_mul_f32_e32 v63, v63, v7                                 // 0000000068B4: 0A7E0F3F
	v_mul_f32_e32 v60, v60, v84                                // 0000000068B8: 0A78A93C
	v_mul_f32_e32 v61, v61, v85                                // 0000000068BC: 0A7AAB3D
	v_mul_f32_e32 v62, v62, v86                                // 0000000068C0: 0A7CAD3E
	v_mul_f32_e32 v63, v63, v87                                // 0000000068C4: 0A7EAF3F
	v_mul_f32_e64 v4, -v64, s6                                 // 0000000068C8: D1050004 20000D40
	v_mul_f32_e64 v5, -v65, s6                                 // 0000000068D0: D1050005 20000D41
	v_mul_f32_e64 v6, -v66, s6                                 // 0000000068D8: D1050006 20000D42
	v_mul_f32_e64 v7, -v67, s6                                 // 0000000068E0: D1050007 20000D43
	v_exp_f32_e32 v4, v4                                       // 0000000068E8: 7E084104
	v_exp_f32_e32 v5, v5                                       // 0000000068EC: 7E0A4105
	v_exp_f32_e32 v6, v6                                       // 0000000068F0: 7E0C4106
	v_exp_f32_e32 v7, v7                                       // 0000000068F4: 7E0E4107
	v_add_f32_e64 v4, v4, 1.0                                  // 0000000068F8: D1010004 0001E504
	v_add_f32_e64 v5, v5, 1.0                                  // 000000006900: D1010005 0001E505
	v_add_f32_e64 v6, v6, 1.0                                  // 000000006908: D1010006 0001E506
	v_add_f32_e64 v7, v7, 1.0                                  // 000000006910: D1010007 0001E507
	v_rcp_f32_e32 v4, v4                                       // 000000006918: 7E084504
	v_rcp_f32_e32 v5, v5                                       // 00000000691C: 7E0A4505
	v_rcp_f32_e32 v6, v6                                       // 000000006920: 7E0C4506
	v_rcp_f32_e32 v7, v7                                       // 000000006924: 7E0E4507
	v_mul_f32_e32 v64, v64, v4                                 // 000000006928: 0A800940
	v_mul_f32_e32 v65, v65, v5                                 // 00000000692C: 0A820B41
	v_mul_f32_e32 v66, v66, v6                                 // 000000006930: 0A840D42
	v_mul_f32_e32 v67, v67, v7                                 // 000000006934: 0A860F43
	v_mul_f32_e32 v64, v64, v88                                // 000000006938: 0A80B140
	v_mul_f32_e32 v65, v65, v89                                // 00000000693C: 0A82B341
	v_mul_f32_e32 v66, v66, v90                                // 000000006940: 0A84B542
	v_mul_f32_e32 v67, v67, v91                                // 000000006944: 0A86B743
	v_mul_f32_e64 v4, -v68, s6                                 // 000000006948: D1050004 20000D44
	v_mul_f32_e64 v5, -v69, s6                                 // 000000006950: D1050005 20000D45
	v_mul_f32_e64 v6, -v70, s6                                 // 000000006958: D1050006 20000D46
	v_mul_f32_e64 v7, -v71, s6                                 // 000000006960: D1050007 20000D47
	v_exp_f32_e32 v4, v4                                       // 000000006968: 7E084104
	v_exp_f32_e32 v5, v5                                       // 00000000696C: 7E0A4105
	v_exp_f32_e32 v6, v6                                       // 000000006970: 7E0C4106
	v_exp_f32_e32 v7, v7                                       // 000000006974: 7E0E4107
	v_add_f32_e64 v4, v4, 1.0                                  // 000000006978: D1010004 0001E504
	v_add_f32_e64 v5, v5, 1.0                                  // 000000006980: D1010005 0001E505
	v_add_f32_e64 v6, v6, 1.0                                  // 000000006988: D1010006 0001E506
	v_add_f32_e64 v7, v7, 1.0                                  // 000000006990: D1010007 0001E507
	v_rcp_f32_e32 v4, v4                                       // 000000006998: 7E084504
	v_rcp_f32_e32 v5, v5                                       // 00000000699C: 7E0A4505
	v_rcp_f32_e32 v6, v6                                       // 0000000069A0: 7E0C4506
	v_rcp_f32_e32 v7, v7                                       // 0000000069A4: 7E0E4507
	v_mul_f32_e32 v68, v68, v4                                 // 0000000069A8: 0A880944
	v_mul_f32_e32 v69, v69, v5                                 // 0000000069AC: 0A8A0B45
	v_mul_f32_e32 v70, v70, v6                                 // 0000000069B0: 0A8C0D46
	v_mul_f32_e32 v71, v71, v7                                 // 0000000069B4: 0A8E0F47
	v_mul_f32_e32 v68, v68, v92                                // 0000000069B8: 0A88B944
	v_mul_f32_e32 v69, v69, v93                                // 0000000069BC: 0A8ABB45
	v_mul_f32_e32 v70, v70, v94                                // 0000000069C0: 0A8CBD46
	v_mul_f32_e32 v71, v71, v95                                // 0000000069C4: 0A8EBF47

00000000000069c8 <label_0FF5>:
	s_cmp_eq_u32 s7, 0                                         // 0000000069C8: BF068007
	s_cbranch_scc0 label_1002                                  // 0000000069CC: BF84000B
	v_and_b32_e32 v4, 15, v0                                   // 0000000069D0: 2608008F
	v_lshlrev_b32_e32 v4, 2, v4                                // 0000000069D4: 24080882
	buffer_load_dword v28, v4, s[12:15], 0 offen               // 0000000069D8: E0501000 80031C04
	v_add_u32_e32 v4, 64, v4                                   // 0000000069E0: 680808C0
	buffer_load_dword v29, v4, s[12:15], 0 offen               // 0000000069E4: E0501000 80031D04
	v_add_u32_e32 v4, 64, v4                                   // 0000000069EC: 680808C0
	buffer_load_dword v30, v4, s[12:15], 0 offen               // 0000000069F0: E0501000 80031E04
	v_add_u32_e32 v4, 64, v4                                   // 0000000069F8: 680808C0

00000000000069fc <label_1002>:
	v_lshlrev_b32_e32 v4, 2, v0                                // 0000000069FC: 24080082
	s_mul_i32 s60, 0x100, s7                                   // 000000006A00: 923C07FF 00000100
	v_add_u32_e32 v75, s60, v4                                 // 000000006A08: 6896083C
	v_and_b32_e32 v4, 15, v0                                   // 000000006A0C: 2608008F
	v_lshlrev_b32_e32 v76, 2, v4                               // 000000006A10: 24980882
	s_waitcnt lgkmcnt(0)                                       // 000000006A14: BF8CC07F
	s_barrier                                                  // 000000006A18: BF8A0000
	v_mov_b32_e32 v72, 0x358637bd                              // 000000006A1C: 7E9002FF 358637BD
	v_max3_f32 v72, |v48|, |v49|, v72                          // 000000006A24: D1D30348 05226330
	v_max3_f32 v72, |v50|, |v51|, v72                          // 000000006A2C: D1D30348 05226732
	v_max3_f32 v72, |v60|, |v61|, v72                          // 000000006A34: D1D30348 05227B3C
	v_max3_f32 v72, |v62|, |v63|, v72                          // 000000006A3C: D1D30348 05227F3E
	ds_write_b32 v75, v72                                      // 000000006A44: D81A0000 0000484B
	s_waitcnt lgkmcnt(0)                                       // 000000006A4C: BF8CC07F
	s_barrier                                                  // 000000006A50: BF8A0000
	ds_read_b32 v4, v76                                        // 000000006A54: D86C0000 0400004C
	ds_read_b32 v5, v76 offset:64                              // 000000006A5C: D86C0040 0500004C
	ds_read_b32 v6, v76 offset:128                             // 000000006A64: D86C0080 0600004C
	ds_read_b32 v7, v76 offset:192                             // 000000006A6C: D86C00C0 0700004C
	ds_read_b32 v8, v76 offset:256                             // 000000006A74: D86C0100 0800004C
	ds_read_b32 v9, v76 offset:320                             // 000000006A7C: D86C0140 0900004C
	ds_read_b32 v10, v76 offset:384                            // 000000006A84: D86C0180 0A00004C
	ds_read_b32 v11, v76 offset:448                            // 000000006A8C: D86C01C0 0B00004C
	ds_read_b32 v12, v76 offset:512                            // 000000006A94: D86C0200 0C00004C
	ds_read_b32 v13, v76 offset:576                            // 000000006A9C: D86C0240 0D00004C
	ds_read_b32 v14, v76 offset:640                            // 000000006AA4: D86C0280 0E00004C
	ds_read_b32 v15, v76 offset:704                            // 000000006AAC: D86C02C0 0F00004C
	ds_read_b32 v16, v76 offset:768                            // 000000006AB4: D86C0300 1000004C
	ds_read_b32 v17, v76 offset:832                            // 000000006ABC: D86C0340 1100004C
	ds_read_b32 v18, v76 offset:896                            // 000000006AC4: D86C0380 1200004C
	ds_read_b32 v19, v76 offset:960                            // 000000006ACC: D86C03C0 1300004C
	s_waitcnt lgkmcnt(0)                                       // 000000006AD4: BF8CC07F
	s_barrier                                                  // 000000006AD8: BF8A0000
	v_max3_f32 v72, |v4|, |v5|, v72                            // 000000006ADC: D1D30348 05220B04
	v_max3_f32 v72, |v6|, |v7|, v72                            // 000000006AE4: D1D30348 05220F06
	v_max3_f32 v72, |v8|, |v9|, v72                            // 000000006AEC: D1D30348 05221308
	v_max3_f32 v72, |v10|, |v11|, v72                          // 000000006AF4: D1D30348 0522170A
	v_max3_f32 v72, |v12|, |v13|, v72                          // 000000006AFC: D1D30348 05221B0C
	v_max3_f32 v72, |v14|, |v15|, v72                          // 000000006B04: D1D30348 05221F0E
	v_max3_f32 v72, |v16|, |v17|, v72                          // 000000006B0C: D1D30348 05222310
	v_max3_f32 v72, |v18|, |v19|, v72                          // 000000006B14: D1D30348 05222712
	v_rcp_f32_e32 v72, v72                                     // 000000006B1C: 7E904548
	v_mov_b32_e32 v4, 0x43700000                               // 000000006B20: 7E0802FF 43700000
	v_mul_f32_e32 v72, v4, v72                                 // 000000006B28: 0A909104
	v_mov_b32_e32 v4, v72                                      // 000000006B2C: 7E080348
	v_mov_b32_e32 v5, v4                                       // 000000006B30: 7E0A0304
	v_pk_mul_f32 v[48:49], v[4:5], v[48:49]                    // 000000006B34: D3B14030 18026104
	v_pk_mul_f32 v[50:51], v[4:5], v[50:51]                    // 000000006B3C: D3B14032 18026504
	v_cvt_pk_fp8_f32 v48, v48, v49                             // 000000006B44: D2A20030 00026330
	v_cvt_pk_fp8_f32 v48, v50, v51 op_sel:[0,0,1]              // 000000006B4C: D2A24030 00026732
	v_pk_mul_f32 v[60:61], v[4:5], v[60:61]                    // 000000006B54: D3B1403C 18027904
	v_pk_mul_f32 v[62:63], v[4:5], v[62:63]                    // 000000006B5C: D3B1403E 18027D04
	v_cvt_pk_fp8_f32 v60, v60, v61                             // 000000006B64: D2A2003C 00027B3C
	v_cvt_pk_fp8_f32 v60, v62, v63 op_sel:[0,0,1]              // 000000006B6C: D2A2403C 00027F3E
	v_rcp_f32_e32 v72, v72                                     // 000000006B74: 7E904548
	v_mov_b32_e32 v73, 0x358637bd                              // 000000006B78: 7E9202FF 358637BD
	v_max3_f32 v73, |v52|, |v53|, v73                          // 000000006B80: D1D30349 05266B34
	v_max3_f32 v73, |v54|, |v55|, v73                          // 000000006B88: D1D30349 05266F36
	v_max3_f32 v73, |v64|, |v65|, v73                          // 000000006B90: D1D30349 05268340
	v_max3_f32 v73, |v66|, |v67|, v73                          // 000000006B98: D1D30349 05268742
	ds_write_b32 v75, v73                                      // 000000006BA0: D81A0000 0000494B
	s_waitcnt lgkmcnt(0)                                       // 000000006BA8: BF8CC07F
	s_barrier                                                  // 000000006BAC: BF8A0000
	ds_read_b32 v4, v76                                        // 000000006BB0: D86C0000 0400004C
	ds_read_b32 v5, v76 offset:64                              // 000000006BB8: D86C0040 0500004C
	ds_read_b32 v6, v76 offset:128                             // 000000006BC0: D86C0080 0600004C
	ds_read_b32 v7, v76 offset:192                             // 000000006BC8: D86C00C0 0700004C
	ds_read_b32 v8, v76 offset:256                             // 000000006BD0: D86C0100 0800004C
	ds_read_b32 v9, v76 offset:320                             // 000000006BD8: D86C0140 0900004C
	ds_read_b32 v10, v76 offset:384                            // 000000006BE0: D86C0180 0A00004C
	ds_read_b32 v11, v76 offset:448                            // 000000006BE8: D86C01C0 0B00004C
	ds_read_b32 v12, v76 offset:512                            // 000000006BF0: D86C0200 0C00004C
	ds_read_b32 v13, v76 offset:576                            // 000000006BF8: D86C0240 0D00004C
	ds_read_b32 v14, v76 offset:640                            // 000000006C00: D86C0280 0E00004C
	ds_read_b32 v15, v76 offset:704                            // 000000006C08: D86C02C0 0F00004C
	ds_read_b32 v16, v76 offset:768                            // 000000006C10: D86C0300 1000004C
	ds_read_b32 v17, v76 offset:832                            // 000000006C18: D86C0340 1100004C
	ds_read_b32 v18, v76 offset:896                            // 000000006C20: D86C0380 1200004C
	ds_read_b32 v19, v76 offset:960                            // 000000006C28: D86C03C0 1300004C
	s_waitcnt lgkmcnt(0)                                       // 000000006C30: BF8CC07F
	s_barrier                                                  // 000000006C34: BF8A0000
	v_max3_f32 v73, |v4|, |v5|, v73                            // 000000006C38: D1D30349 05260B04
	v_max3_f32 v73, |v6|, |v7|, v73                            // 000000006C40: D1D30349 05260F06
	v_max3_f32 v73, |v8|, |v9|, v73                            // 000000006C48: D1D30349 05261308
	v_max3_f32 v73, |v10|, |v11|, v73                          // 000000006C50: D1D30349 0526170A
	v_max3_f32 v73, |v12|, |v13|, v73                          // 000000006C58: D1D30349 05261B0C
	v_max3_f32 v73, |v14|, |v15|, v73                          // 000000006C60: D1D30349 05261F0E
	v_max3_f32 v73, |v16|, |v17|, v73                          // 000000006C68: D1D30349 05262310
	v_max3_f32 v73, |v18|, |v19|, v73                          // 000000006C70: D1D30349 05262712
	v_rcp_f32_e32 v73, v73                                     // 000000006C78: 7E924549
	v_mov_b32_e32 v4, 0x43700000                               // 000000006C7C: 7E0802FF 43700000
	v_mul_f32_e32 v73, v4, v73                                 // 000000006C84: 0A929304
	v_mov_b32_e32 v4, v73                                      // 000000006C88: 7E080349
	v_mov_b32_e32 v5, v4                                       // 000000006C8C: 7E0A0304
	v_pk_mul_f32 v[52:53], v[4:5], v[52:53]                    // 000000006C90: D3B14034 18026904
	v_pk_mul_f32 v[54:55], v[4:5], v[54:55]                    // 000000006C98: D3B14036 18026D04
	v_cvt_pk_fp8_f32 v52, v52, v53                             // 000000006CA0: D2A20034 00026B34
	v_cvt_pk_fp8_f32 v52, v54, v55 op_sel:[0,0,1]              // 000000006CA8: D2A24034 00026F36
	v_pk_mul_f32 v[64:65], v[4:5], v[64:65]                    // 000000006CB0: D3B14040 18028104
	v_pk_mul_f32 v[66:67], v[4:5], v[66:67]                    // 000000006CB8: D3B14042 18028504
	v_cvt_pk_fp8_f32 v64, v64, v65                             // 000000006CC0: D2A20040 00028340
	v_cvt_pk_fp8_f32 v64, v66, v67 op_sel:[0,0,1]              // 000000006CC8: D2A24040 00028742
	v_rcp_f32_e32 v73, v73                                     // 000000006CD0: 7E924549
	v_mov_b32_e32 v74, 0x358637bd                              // 000000006CD4: 7E9402FF 358637BD
	v_max3_f32 v74, |v56|, |v57|, v74                          // 000000006CDC: D1D3034A 052A7338
	v_max3_f32 v74, |v58|, |v59|, v74                          // 000000006CE4: D1D3034A 052A773A
	v_max3_f32 v74, |v68|, |v69|, v74                          // 000000006CEC: D1D3034A 052A8B44
	v_max3_f32 v74, |v70|, |v71|, v74                          // 000000006CF4: D1D3034A 052A8F46
	ds_write_b32 v75, v74                                      // 000000006CFC: D81A0000 00004A4B
	s_waitcnt lgkmcnt(0)                                       // 000000006D04: BF8CC07F
	s_barrier                                                  // 000000006D08: BF8A0000
	ds_read_b32 v4, v76                                        // 000000006D0C: D86C0000 0400004C
	ds_read_b32 v5, v76 offset:64                              // 000000006D14: D86C0040 0500004C
	ds_read_b32 v6, v76 offset:128                             // 000000006D1C: D86C0080 0600004C
	ds_read_b32 v7, v76 offset:192                             // 000000006D24: D86C00C0 0700004C
	ds_read_b32 v8, v76 offset:256                             // 000000006D2C: D86C0100 0800004C
	ds_read_b32 v9, v76 offset:320                             // 000000006D34: D86C0140 0900004C
	ds_read_b32 v10, v76 offset:384                            // 000000006D3C: D86C0180 0A00004C
	ds_read_b32 v11, v76 offset:448                            // 000000006D44: D86C01C0 0B00004C
	ds_read_b32 v12, v76 offset:512                            // 000000006D4C: D86C0200 0C00004C
	ds_read_b32 v13, v76 offset:576                            // 000000006D54: D86C0240 0D00004C
	ds_read_b32 v14, v76 offset:640                            // 000000006D5C: D86C0280 0E00004C
	ds_read_b32 v15, v76 offset:704                            // 000000006D64: D86C02C0 0F00004C
	ds_read_b32 v16, v76 offset:768                            // 000000006D6C: D86C0300 1000004C
	ds_read_b32 v17, v76 offset:832                            // 000000006D74: D86C0340 1100004C
	ds_read_b32 v18, v76 offset:896                            // 000000006D7C: D86C0380 1200004C
	ds_read_b32 v19, v76 offset:960                            // 000000006D84: D86C03C0 1300004C
	s_waitcnt lgkmcnt(0)                                       // 000000006D8C: BF8CC07F
	s_barrier                                                  // 000000006D90: BF8A0000
	v_max3_f32 v74, |v4|, |v5|, v74                            // 000000006D94: D1D3034A 052A0B04
	v_max3_f32 v74, |v6|, |v7|, v74                            // 000000006D9C: D1D3034A 052A0F06
	v_max3_f32 v74, |v8|, |v9|, v74                            // 000000006DA4: D1D3034A 052A1308
	v_max3_f32 v74, |v10|, |v11|, v74                          // 000000006DAC: D1D3034A 052A170A
	v_max3_f32 v74, |v12|, |v13|, v74                          // 000000006DB4: D1D3034A 052A1B0C
	v_max3_f32 v74, |v14|, |v15|, v74                          // 000000006DBC: D1D3034A 052A1F0E
	v_max3_f32 v74, |v16|, |v17|, v74                          // 000000006DC4: D1D3034A 052A2310
	v_max3_f32 v74, |v18|, |v19|, v74                          // 000000006DCC: D1D3034A 052A2712
	v_rcp_f32_e32 v74, v74                                     // 000000006DD4: 7E94454A
	v_mov_b32_e32 v4, 0x43700000                               // 000000006DD8: 7E0802FF 43700000
	v_mul_f32_e32 v74, v4, v74                                 // 000000006DE0: 0A949504
	v_mov_b32_e32 v4, v74                                      // 000000006DE4: 7E08034A
	v_mov_b32_e32 v5, v4                                       // 000000006DE8: 7E0A0304
	v_pk_mul_f32 v[56:57], v[4:5], v[56:57]                    // 000000006DEC: D3B14038 18027104
	v_pk_mul_f32 v[58:59], v[4:5], v[58:59]                    // 000000006DF4: D3B1403A 18027504
	v_cvt_pk_fp8_f32 v56, v56, v57                             // 000000006DFC: D2A20038 00027338
	v_cvt_pk_fp8_f32 v56, v58, v59 op_sel:[0,0,1]              // 000000006E04: D2A24038 0002773A
	v_pk_mul_f32 v[68:69], v[4:5], v[68:69]                    // 000000006E0C: D3B14044 18028904
	v_pk_mul_f32 v[70:71], v[4:5], v[70:71]                    // 000000006E14: D3B14046 18028D04
	v_cvt_pk_fp8_f32 v68, v68, v69                             // 000000006E1C: D2A20044 00028B44
	v_cvt_pk_fp8_f32 v68, v70, v71 op_sel:[0,0,1]              // 000000006E24: D2A24044 00028F46
	v_rcp_f32_e32 v74, v74                                     // 000000006E2C: 7E94454A
	v_lshrrev_b32_e32 v4, 5, v0                                // 000000006E30: 20080085
	v_mul_lo_u32 v20, 34, v4                                   // 000000006E34: D2850014 000208A2
	v_and_b32_e32 v4, 31, v0                                   // 000000006E3C: 2608009F
	v_lshrrev_b32_e32 v5, 4, v4                                // 000000006E40: 200A0884
	v_add_u32_e32 v20, v5, v20                                 // 000000006E44: 68282905
	v_and_b32_e32 v4, 15, v0                                   // 000000006E48: 2608008F
	v_mul_lo_u32 v5, 2, v4                                     // 000000006E4C: D2850005 00020882
	v_add_u32_e32 v20, v5, v20                                 // 000000006E54: 68282905
	s_mul_i32 s60, s7, 0x44                                    // 000000006E58: 923CFF07 00000044
	v_add_u32_e32 v20, s60, v20                                // 000000006E60: 6828283C
	v_lshlrev_b32_e32 v20, 2, v20                              // 000000006E64: 24282882
	ds_write_b32 v20, v48                                      // 000000006E68: D81A0000 00003014
	ds_write_b32 v20, v52 offset:2176                          // 000000006E70: D81A0880 00003414
	ds_write_b32 v20, v56 offset:4352                          // 000000006E78: D81A1100 00003814
	ds_write_b32 v20, v60 offset:1088                          // 000000006E80: D81A0440 00003C14
	ds_write_b32 v20, v64 offset:3264                          // 000000006E88: D81A0CC0 00004014
	ds_write_b32 v20, v68 offset:5440                          // 000000006E90: D81A1540 00004414
	v_lshrrev_b32_e32 v4, 5, v0                                // 000000006E98: 20080085
	v_xor_b32_e32 v5, 1, v4                                    // 000000006E9C: 2A0A0881
	s_mul_i32 s60, s65, 1                                      // 000000006EA0: 923C8141
	s_cmp_eq_u32 s88, 0                                        // 000000006EA4: BF068058
	s_cselect_b32 s61, 1, 8                                    // 000000006EA8: 853D8881
	s_mul_i32 s60, s61, s60                                    // 000000006EAC: 923C3C3D
	v_readlane_b32 s82, v3, 0                                  // 000000006EB0: D2890052 00010103
	s_lshr_b32 s61, s82, 24                                    // 000000006EB8: 8F3D9852
	s_and_b32 s82, s82, 0xffffff                               // 000000006EBC: 8652FF52 00FFFFFF
	s_mul_i32 s82, s82, s71                                    // 000000006EC4: 92524752
	s_mul_i32 s61, s60, s61                                    // 000000006EC8: 923D3D3C
	s_add_u32 s82, s82, s61                                    // 000000006ECC: 80523D52
	v_mul_lo_u32 v6, v5, s82                                   // 000000006ED0: D2850006 0000A505
	v_readlane_b32 s82, v3, 1                                  // 000000006ED8: D2890052 00010303
	s_lshr_b32 s61, s82, 24                                    // 000000006EE0: 8F3D9852
	s_and_b32 s82, s82, 0xffffff                               // 000000006EE4: 8652FF52 00FFFFFF
	s_mul_i32 s82, s82, s71                                    // 000000006EEC: 92524752
	s_mul_i32 s61, s60, s61                                    // 000000006EF0: 923D3D3C
	s_add_u32 s82, s82, s61                                    // 000000006EF4: 80523D52
	v_mul_lo_u32 v7, v4, s82                                   // 000000006EF8: D2850007 0000A504
	v_add_u32_e32 v40, v6, v7                                  // 000000006F00: 68500F06
	v_readlane_b32 s82, v3, 2                                  // 000000006F04: D2890052 00010503
	s_lshr_b32 s61, s82, 24                                    // 000000006F0C: 8F3D9852
	s_and_b32 s82, s82, 0xffffff                               // 000000006F10: 8652FF52 00FFFFFF
	s_mul_i32 s82, s82, s71                                    // 000000006F18: 92524752
	s_mul_i32 s61, s60, s61                                    // 000000006F1C: 923D3D3C
	s_add_u32 s82, s82, s61                                    // 000000006F20: 80523D52
	v_mul_lo_u32 v6, v5, s82                                   // 000000006F24: D2850006 0000A505
	v_readlane_b32 s82, v3, 3                                  // 000000006F2C: D2890052 00010703
	s_lshr_b32 s61, s82, 24                                    // 000000006F34: 8F3D9852
	s_and_b32 s82, s82, 0xffffff                               // 000000006F38: 8652FF52 00FFFFFF
	s_mul_i32 s82, s82, s71                                    // 000000006F40: 92524752
	s_mul_i32 s61, s60, s61                                    // 000000006F44: 923D3D3C
	s_add_u32 s82, s82, s61                                    // 000000006F48: 80523D52
	v_mul_lo_u32 v7, v4, s82                                   // 000000006F4C: D2850007 0000A504
	v_add_u32_e32 v41, v6, v7                                  // 000000006F54: 68520F06
	v_readlane_b32 s82, v3, 4                                  // 000000006F58: D2890052 00010903
	s_lshr_b32 s61, s82, 24                                    // 000000006F60: 8F3D9852
	s_and_b32 s82, s82, 0xffffff                               // 000000006F64: 8652FF52 00FFFFFF
	s_mul_i32 s82, s82, s71                                    // 000000006F6C: 92524752
	s_mul_i32 s61, s60, s61                                    // 000000006F70: 923D3D3C
	s_add_u32 s82, s82, s61                                    // 000000006F74: 80523D52
	v_mul_lo_u32 v6, v5, s82                                   // 000000006F78: D2850006 0000A505
	v_readlane_b32 s82, v3, 5                                  // 000000006F80: D2890052 00010B03
	s_lshr_b32 s61, s82, 24                                    // 000000006F88: 8F3D9852
	s_and_b32 s82, s82, 0xffffff                               // 000000006F8C: 8652FF52 00FFFFFF
	s_mul_i32 s82, s82, s71                                    // 000000006F94: 92524752
	s_mul_i32 s61, s60, s61                                    // 000000006F98: 923D3D3C
	s_add_u32 s82, s82, s61                                    // 000000006F9C: 80523D52
	v_mul_lo_u32 v7, v4, s82                                   // 000000006FA0: D2850007 0000A504
	v_add_u32_e32 v42, v6, v7                                  // 000000006FA8: 68540F06
	v_readlane_b32 s82, v3, 6                                  // 000000006FAC: D2890052 00010D03
	s_lshr_b32 s61, s82, 24                                    // 000000006FB4: 8F3D9852
	s_and_b32 s82, s82, 0xffffff                               // 000000006FB8: 8652FF52 00FFFFFF
	s_mul_i32 s82, s82, s71                                    // 000000006FC0: 92524752
	s_mul_i32 s61, s60, s61                                    // 000000006FC4: 923D3D3C
	s_add_u32 s82, s82, s61                                    // 000000006FC8: 80523D52
	v_mul_lo_u32 v6, v5, s82                                   // 000000006FCC: D2850006 0000A505
	v_readlane_b32 s82, v3, 7                                  // 000000006FD4: D2890052 00010F03
	s_lshr_b32 s61, s82, 24                                    // 000000006FDC: 8F3D9852
	s_and_b32 s82, s82, 0xffffff                               // 000000006FE0: 8652FF52 00FFFFFF
	s_mul_i32 s82, s82, s71                                    // 000000006FE8: 92524752
	s_mul_i32 s61, s60, s61                                    // 000000006FEC: 923D3D3C
	s_add_u32 s82, s82, s61                                    // 000000006FF0: 80523D52
	v_mul_lo_u32 v7, v4, s82                                   // 000000006FF4: D2850007 0000A504
	v_add_u32_e32 v43, v6, v7                                  // 000000006FFC: 68560F06
	v_readlane_b32 s82, v3, 8                                  // 000000007000: D2890052 00011103
	s_lshr_b32 s61, s82, 24                                    // 000000007008: 8F3D9852
	s_and_b32 s82, s82, 0xffffff                               // 00000000700C: 8652FF52 00FFFFFF
	s_mul_i32 s82, s82, s71                                    // 000000007014: 92524752
	s_mul_i32 s61, s60, s61                                    // 000000007018: 923D3D3C
	s_add_u32 s82, s82, s61                                    // 00000000701C: 80523D52
	v_mul_lo_u32 v6, v5, s82                                   // 000000007020: D2850006 0000A505
	v_readlane_b32 s82, v3, 9                                  // 000000007028: D2890052 00011303
	s_lshr_b32 s61, s82, 24                                    // 000000007030: 8F3D9852
	s_and_b32 s82, s82, 0xffffff                               // 000000007034: 8652FF52 00FFFFFF
	s_mul_i32 s82, s82, s71                                    // 00000000703C: 92524752
	s_mul_i32 s61, s60, s61                                    // 000000007040: 923D3D3C
	s_add_u32 s82, s82, s61                                    // 000000007044: 80523D52
	v_mul_lo_u32 v7, v4, s82                                   // 000000007048: D2850007 0000A504
	v_add_u32_e32 v44, v6, v7                                  // 000000007050: 68580F06
	v_readlane_b32 s82, v3, 10                                 // 000000007054: D2890052 00011503
	s_lshr_b32 s61, s82, 24                                    // 00000000705C: 8F3D9852
	s_and_b32 s82, s82, 0xffffff                               // 000000007060: 8652FF52 00FFFFFF
	s_mul_i32 s82, s82, s71                                    // 000000007068: 92524752
	s_mul_i32 s61, s60, s61                                    // 00000000706C: 923D3D3C
	s_add_u32 s82, s82, s61                                    // 000000007070: 80523D52
	v_mul_lo_u32 v6, v5, s82                                   // 000000007074: D2850006 0000A505
	v_readlane_b32 s82, v3, 11                                 // 00000000707C: D2890052 00011703
	s_lshr_b32 s61, s82, 24                                    // 000000007084: 8F3D9852
	s_and_b32 s82, s82, 0xffffff                               // 000000007088: 8652FF52 00FFFFFF
	s_mul_i32 s82, s82, s71                                    // 000000007090: 92524752
	s_mul_i32 s61, s60, s61                                    // 000000007094: 923D3D3C
	s_add_u32 s82, s82, s61                                    // 000000007098: 80523D52
	v_mul_lo_u32 v7, v4, s82                                   // 00000000709C: D2850007 0000A504
	v_add_u32_e32 v45, v6, v7                                  // 0000000070A4: 685A0F06
	v_and_b32_e32 v4, 31, v0                                   // 0000000070A8: 2608009F
	v_lshrrev_b32_e32 v4, 1, v4                                // 0000000070AC: 20080881
	s_cmp_eq_u32 s88, 0                                        // 0000000070B0: BF068058
	s_cselect_b32 s61, 2, 4                                    // 0000000070B4: 853D8482
	v_mul_lo_u32 v4, v4, s61                                   // 0000000070B8: D2850004 00007B04
	v_and_b32_e64 v5, v0, 1                                    // 0000000070C0: D1130005 00010300
	v_add_u32_e32 v4, v4, v5                                   // 0000000070C8: 68080B04
	v_lshlrev_b32_e32 v4, 2, v4                                // 0000000070CC: 24080882
	v_add_u32_e32 v40, v40, v4                                 // 0000000070D0: 68500928
	v_add_u32_e32 v41, v41, v4                                 // 0000000070D4: 68520929
	v_add_u32_e32 v42, v42, v4                                 // 0000000070D8: 6854092A
	v_add_u32_e32 v43, v43, v4                                 // 0000000070DC: 6856092B
	v_add_u32_e32 v44, v44, v4                                 // 0000000070E0: 6858092C
	v_add_u32_e32 v45, v45, v4                                 // 0000000070E4: 685A092D
	s_waitcnt lgkmcnt(0)                                       // 0000000070E8: BF8CC07F
	s_barrier                                                  // 0000000070EC: BF8A0000
	ds_read_b32 v48, v21                                       // 0000000070F0: D86C0000 30000015
	ds_read_b32 v49, v21 offset:64                             // 0000000070F8: D86C0040 31000015
	ds_read_b32 v50, v21 offset:2176                           // 000000007100: D86C0880 32000015
	ds_read_b32 v51, v21 offset:2240                           // 000000007108: D86C08C0 33000015
	ds_read_b32 v52, v21 offset:4352                           // 000000007110: D86C1100 34000015
	ds_read_b32 v53, v21 offset:4416                           // 000000007118: D86C1140 35000015
	s_waitcnt lgkmcnt(0)                                       // 000000007120: BF8CC07F
	s_mov_b32 s36, -1                                          // 000000007124: BEA400C1
	s_mov_b32 s37, -1                                          // 000000007128: BEA500C1
	v_mov_b32_e32 v7, 0                                        // 00000000712C: 7E0E0280
	s_or_b32 s9, s9, 0x40000                                   // 000000007130: 8709FF09 00040000
	s_mov_b64 exec, s[36:37]                                   // 000000007138: BEFE0124
	v_mov_b32_e32 v6, v40                                      // 00000000713C: 7E0C0328
	s_mov_b64 s[60:61], 0                                      // 000000007140: BEBC0180
	v_readlane_b32 s82, v3, 0                                  // 000000007144: D2890052 00010103
	s_and_b32 s82, s82, 0xffffff                               // 00000000714C: 8652FF52 00FFFFFF
	s_cmp_lt_u32 s82, s66                                      // 000000007154: BF0A4252
	s_cselect_b32 s20, s36, s60                                // 000000007158: 85143C24
	v_readlane_b32 s82, v3, 1                                  // 00000000715C: D2890052 00010303
	s_and_b32 s82, s82, 0xffffff                               // 000000007164: 8652FF52 00FFFFFF
	s_cmp_lt_u32 s82, s66                                      // 00000000716C: BF0A4252
	s_cselect_b32 s21, s36, s60                                // 000000007170: 85153C24
	s_mov_b64 exec, s[20:21]                                   // 000000007174: BEFE0114
	buffer_store_dword v48, v6, s[8:11], 0 offen               // 000000007178: E0701000 80023006
	s_mov_b64 exec, s[36:37]                                   // 000000007180: BEFE0124
	v_mov_b32_e32 v6, v41                                      // 000000007184: 7E0C0329
	s_mov_b64 s[60:61], 0                                      // 000000007188: BEBC0180
	v_readlane_b32 s82, v3, 2                                  // 00000000718C: D2890052 00010503
	s_and_b32 s82, s82, 0xffffff                               // 000000007194: 8652FF52 00FFFFFF
	s_cmp_lt_u32 s82, s66                                      // 00000000719C: BF0A4252
	s_cselect_b32 s20, s36, s60                                // 0000000071A0: 85143C24
	v_readlane_b32 s82, v3, 3                                  // 0000000071A4: D2890052 00010703
	s_and_b32 s82, s82, 0xffffff                               // 0000000071AC: 8652FF52 00FFFFFF
	s_cmp_lt_u32 s82, s66                                      // 0000000071B4: BF0A4252
	s_cselect_b32 s21, s36, s60                                // 0000000071B8: 85153C24
	s_mov_b64 exec, s[20:21]                                   // 0000000071BC: BEFE0114
	buffer_store_dword v49, v6, s[8:11], 0 offen               // 0000000071C0: E0701000 80023106
	s_mov_b64 exec, s[36:37]                                   // 0000000071C8: BEFE0124
	v_mov_b32_e32 v6, v42                                      // 0000000071CC: 7E0C032A
	s_mov_b64 s[60:61], 0                                      // 0000000071D0: BEBC0180
	v_readlane_b32 s82, v3, 4                                  // 0000000071D4: D2890052 00010903
	s_and_b32 s82, s82, 0xffffff                               // 0000000071DC: 8652FF52 00FFFFFF
	s_cmp_lt_u32 s82, s66                                      // 0000000071E4: BF0A4252
	s_cselect_b32 s20, s36, s60                                // 0000000071E8: 85143C24
	v_readlane_b32 s82, v3, 5                                  // 0000000071EC: D2890052 00010B03
	s_and_b32 s82, s82, 0xffffff                               // 0000000071F4: 8652FF52 00FFFFFF
	s_cmp_lt_u32 s82, s66                                      // 0000000071FC: BF0A4252
	s_cselect_b32 s21, s36, s60                                // 000000007200: 85153C24
	s_mov_b64 exec, s[20:21]                                   // 000000007204: BEFE0114
	buffer_store_dword v50, v6, s[8:11], 0 offen               // 000000007208: E0701000 80023206
	s_mov_b64 exec, s[36:37]                                   // 000000007210: BEFE0124
	v_mov_b32_e32 v6, v43                                      // 000000007214: 7E0C032B
	s_mov_b64 s[60:61], 0                                      // 000000007218: BEBC0180
	v_readlane_b32 s82, v3, 6                                  // 00000000721C: D2890052 00010D03
	s_and_b32 s82, s82, 0xffffff                               // 000000007224: 8652FF52 00FFFFFF
	s_cmp_lt_u32 s82, s66                                      // 00000000722C: BF0A4252
	s_cselect_b32 s20, s36, s60                                // 000000007230: 85143C24
	v_readlane_b32 s82, v3, 7                                  // 000000007234: D2890052 00010F03
	s_and_b32 s82, s82, 0xffffff                               // 00000000723C: 8652FF52 00FFFFFF
	s_cmp_lt_u32 s82, s66                                      // 000000007244: BF0A4252
	s_cselect_b32 s21, s36, s60                                // 000000007248: 85153C24
	s_mov_b64 exec, s[20:21]                                   // 00000000724C: BEFE0114
	buffer_store_dword v51, v6, s[8:11], 0 offen               // 000000007250: E0701000 80023306
	s_mov_b64 exec, s[36:37]                                   // 000000007258: BEFE0124
	v_mov_b32_e32 v6, v44                                      // 00000000725C: 7E0C032C
	s_mov_b64 s[60:61], 0                                      // 000000007260: BEBC0180
	v_readlane_b32 s82, v3, 8                                  // 000000007264: D2890052 00011103
	s_and_b32 s82, s82, 0xffffff                               // 00000000726C: 8652FF52 00FFFFFF
	s_cmp_lt_u32 s82, s66                                      // 000000007274: BF0A4252
	s_cselect_b32 s20, s36, s60                                // 000000007278: 85143C24
	v_readlane_b32 s82, v3, 9                                  // 00000000727C: D2890052 00011303
	s_and_b32 s82, s82, 0xffffff                               // 000000007284: 8652FF52 00FFFFFF
	s_cmp_lt_u32 s82, s66                                      // 00000000728C: BF0A4252
	s_cselect_b32 s21, s36, s60                                // 000000007290: 85153C24
	s_mov_b64 exec, s[20:21]                                   // 000000007294: BEFE0114
	buffer_store_dword v52, v6, s[8:11], 0 offen               // 000000007298: E0701000 80023406
	s_mov_b64 exec, s[36:37]                                   // 0000000072A0: BEFE0124
	v_mov_b32_e32 v6, v45                                      // 0000000072A4: 7E0C032D
	s_mov_b64 s[60:61], 0                                      // 0000000072A8: BEBC0180
	v_readlane_b32 s82, v3, 10                                 // 0000000072AC: D2890052 00011503
	s_and_b32 s82, s82, 0xffffff                               // 0000000072B4: 8652FF52 00FFFFFF
	s_cmp_lt_u32 s82, s66                                      // 0000000072BC: BF0A4252
	s_cselect_b32 s20, s36, s60                                // 0000000072C0: 85143C24
	v_readlane_b32 s82, v3, 11                                 // 0000000072C4: D2890052 00011703
	s_and_b32 s82, s82, 0xffffff                               // 0000000072CC: 8652FF52 00FFFFFF
	s_cmp_lt_u32 s82, s66                                      // 0000000072D4: BF0A4252
	s_cselect_b32 s21, s36, s60                                // 0000000072D8: 85153C24
	s_mov_b64 exec, s[20:21]                                   // 0000000072DC: BEFE0114
	buffer_store_dword v53, v6, s[8:11], 0 offen               // 0000000072E0: E0701000 80023506
	s_mov_b64 exec, s[36:37]                                   // 0000000072E8: BEFE0124
	s_cmp_eq_u32 s7, 0                                         // 0000000072EC: BF068007
	s_cbranch_scc0 label_158E                                  // 0000000072F0: BF84034E
	s_waitcnt vmcnt(6)                                         // 0000000072F4: BF8C0F76
	s_mov_b32 s8, s90                                          // 0000000072F8: BE88005A
	s_mov_b32 s9, s91                                          // 0000000072FC: BE89005B
	s_mul_i32 s60, s66, s71                                    // 000000007300: 923C4742
	s_add_u32 s8, s60, s8                                      // 000000007304: 8008083C
	s_addc_u32 s9, 0, s9                                       // 000000007308: 82090980
	s_lshr_b32 s71, s71, 5                                     // 00000000730C: 8F478547
	s_mul_i32 s60, s66, s71                                    // 000000007310: 923C4742
	s_mov_b32 s10, s60                                         // 000000007314: BE8A003C
	s_lshr_b32 s61, s65, 5                                     // 000000007318: 8F3D8541
	s_mul_i32 s60, s2, 4                                       // 00000000731C: 923C8402
	v_lshrrev_b32_e32 v4, 24, v28                              // 000000007320: 20083898
	v_mul_lo_u32 v4, s61, v4                                   // 000000007324: D2850004 0002083D
	v_and_b32_e32 v28, 0xffffff, v28                           // 00000000732C: 263838FF 00FFFFFF
	v_mul_lo_u32 v28, s71, v28                                 // 000000007334: D285001C 00023847
	v_add_u32_e32 v28, v4, v28                                 // 00000000733C: 68383904
	v_add_u32_e32 v28, s60, v28                                // 000000007340: 6838383C
	v_lshrrev_b32_e32 v4, 24, v29                              // 000000007344: 20083A98
	v_mul_lo_u32 v4, s61, v4                                   // 000000007348: D2850004 0002083D
	v_and_b32_e32 v29, 0xffffff, v29                           // 000000007350: 263A3AFF 00FFFFFF
	v_mul_lo_u32 v29, s71, v29                                 // 000000007358: D285001D 00023A47
	v_add_u32_e32 v29, v4, v29                                 // 000000007360: 683A3B04
	v_add_u32_e32 v29, s60, v29                                // 000000007364: 683A3A3C
	v_lshrrev_b32_e32 v4, 24, v30                              // 000000007368: 20083C98
	v_mul_lo_u32 v4, s61, v4                                   // 00000000736C: D2850004 0002083D
	v_and_b32_e32 v30, 0xffffff, v30                           // 000000007374: 263C3CFF 00FFFFFF
	v_mul_lo_u32 v30, s71, v30                                 // 00000000737C: D285001E 00023C47
	v_add_u32_e32 v30, v4, v30                                 // 000000007384: 683C3D04
	v_add_u32_e32 v30, s60, v30                                // 000000007388: 683C3C3C
	s_mov_b64 exec, 0xffff                                     // 00000000738C: BEFE01FF 0000FFFF
	buffer_store_dword v72, v28, s[8:11], 0 offen              // 000000007394: E0701000 8002481C
	buffer_store_dword v73, v29, s[8:11], 0 offen              // 00000000739C: E0701000 8002491D
	buffer_store_dword v74, v30, s[8:11], 0 offen              // 0000000073A4: E0701000 80024A1E
	s_mov_b64 exec, s[36:37]                                   // 0000000073AC: BEFE0124
	s_branch label_158E                                        // 0000000073B0: BF82031E

00000000000073b4 <label_1270>:
	ds_write_b64 v20, v[48:49]                                 // 0000000073B4: D89A0000 00003014
	ds_write_b64 v20, v[52:53] offset:4352                     // 0000000073BC: D89A1100 00003414
	ds_write_b64 v20, v[56:57] offset:8704                     // 0000000073C4: D89A2200 00003814
	ds_write_b64 v20, v[60:61] offset:2176                     // 0000000073CC: D89A0880 00003C14
	ds_write_b64 v20, v[64:65] offset:6528                     // 0000000073D4: D89A1980 00004014
	ds_write_b64 v20, v[68:69] offset:10880                    // 0000000073DC: D89A2A80 00004414
	v_lshrrev_b32_e32 v4, 5, v0                                // 0000000073E4: 20080085
	v_xor_b32_e32 v5, 1, v4                                    // 0000000073E8: 2A0A0881
	s_mul_i32 s60, s65, 1                                      // 0000000073EC: 923C8141
	s_cmp_eq_u32 s88, 0                                        // 0000000073F0: BF068058
	s_cselect_b32 s61, 1, 8                                    // 0000000073F4: 853D8881
	s_mul_i32 s60, s61, s60                                    // 0000000073F8: 923C3C3D
	v_readlane_b32 s82, v3, 0                                  // 0000000073FC: D2890052 00010103
	s_lshr_b32 s61, s82, 24                                    // 000000007404: 8F3D9852
	s_and_b32 s82, s82, 0xffffff                               // 000000007408: 8652FF52 00FFFFFF
	s_mul_i32 s82, s82, s71                                    // 000000007410: 92524752
	s_mul_i32 s61, s60, s61                                    // 000000007414: 923D3D3C
	s_add_u32 s82, s82, s61                                    // 000000007418: 80523D52
	v_mul_lo_u32 v6, v5, s82                                   // 00000000741C: D2850006 0000A505
	v_readlane_b32 s82, v3, 1                                  // 000000007424: D2890052 00010303
	s_lshr_b32 s61, s82, 24                                    // 00000000742C: 8F3D9852
	s_and_b32 s82, s82, 0xffffff                               // 000000007430: 8652FF52 00FFFFFF
	s_mul_i32 s82, s82, s71                                    // 000000007438: 92524752
	s_mul_i32 s61, s60, s61                                    // 00000000743C: 923D3D3C
	s_add_u32 s82, s82, s61                                    // 000000007440: 80523D52
	v_mul_lo_u32 v7, v4, s82                                   // 000000007444: D2850007 0000A504
	v_add_u32_e32 v40, v6, v7                                  // 00000000744C: 68500F06
	v_readlane_b32 s82, v3, 2                                  // 000000007450: D2890052 00010503
	s_lshr_b32 s61, s82, 24                                    // 000000007458: 8F3D9852
	s_and_b32 s82, s82, 0xffffff                               // 00000000745C: 8652FF52 00FFFFFF
	s_mul_i32 s82, s82, s71                                    // 000000007464: 92524752
	s_mul_i32 s61, s60, s61                                    // 000000007468: 923D3D3C
	s_add_u32 s82, s82, s61                                    // 00000000746C: 80523D52
	v_mul_lo_u32 v6, v5, s82                                   // 000000007470: D2850006 0000A505
	v_readlane_b32 s82, v3, 3                                  // 000000007478: D2890052 00010703
	s_lshr_b32 s61, s82, 24                                    // 000000007480: 8F3D9852
	s_and_b32 s82, s82, 0xffffff                               // 000000007484: 8652FF52 00FFFFFF
	s_mul_i32 s82, s82, s71                                    // 00000000748C: 92524752
	s_mul_i32 s61, s60, s61                                    // 000000007490: 923D3D3C
	s_add_u32 s82, s82, s61                                    // 000000007494: 80523D52
	v_mul_lo_u32 v7, v4, s82                                   // 000000007498: D2850007 0000A504
	v_add_u32_e32 v41, v6, v7                                  // 0000000074A0: 68520F06
	v_readlane_b32 s82, v3, 4                                  // 0000000074A4: D2890052 00010903
	s_lshr_b32 s61, s82, 24                                    // 0000000074AC: 8F3D9852
	s_and_b32 s82, s82, 0xffffff                               // 0000000074B0: 8652FF52 00FFFFFF
	s_mul_i32 s82, s82, s71                                    // 0000000074B8: 92524752
	s_mul_i32 s61, s60, s61                                    // 0000000074BC: 923D3D3C
	s_add_u32 s82, s82, s61                                    // 0000000074C0: 80523D52
	v_mul_lo_u32 v6, v5, s82                                   // 0000000074C4: D2850006 0000A505
	v_readlane_b32 s82, v3, 5                                  // 0000000074CC: D2890052 00010B03
	s_lshr_b32 s61, s82, 24                                    // 0000000074D4: 8F3D9852
	s_and_b32 s82, s82, 0xffffff                               // 0000000074D8: 8652FF52 00FFFFFF
	s_mul_i32 s82, s82, s71                                    // 0000000074E0: 92524752
	s_mul_i32 s61, s60, s61                                    // 0000000074E4: 923D3D3C
	s_add_u32 s82, s82, s61                                    // 0000000074E8: 80523D52
	v_mul_lo_u32 v7, v4, s82                                   // 0000000074EC: D2850007 0000A504
	v_add_u32_e32 v42, v6, v7                                  // 0000000074F4: 68540F06
	v_readlane_b32 s82, v3, 6                                  // 0000000074F8: D2890052 00010D03
	s_lshr_b32 s61, s82, 24                                    // 000000007500: 8F3D9852
	s_and_b32 s82, s82, 0xffffff                               // 000000007504: 8652FF52 00FFFFFF
	s_mul_i32 s82, s82, s71                                    // 00000000750C: 92524752
	s_mul_i32 s61, s60, s61                                    // 000000007510: 923D3D3C
	s_add_u32 s82, s82, s61                                    // 000000007514: 80523D52
	v_mul_lo_u32 v6, v5, s82                                   // 000000007518: D2850006 0000A505
	v_readlane_b32 s82, v3, 7                                  // 000000007520: D2890052 00010F03
	s_lshr_b32 s61, s82, 24                                    // 000000007528: 8F3D9852
	s_and_b32 s82, s82, 0xffffff                               // 00000000752C: 8652FF52 00FFFFFF
	s_mul_i32 s82, s82, s71                                    // 000000007534: 92524752
	s_mul_i32 s61, s60, s61                                    // 000000007538: 923D3D3C
	s_add_u32 s82, s82, s61                                    // 00000000753C: 80523D52
	v_mul_lo_u32 v7, v4, s82                                   // 000000007540: D2850007 0000A504
	v_add_u32_e32 v43, v6, v7                                  // 000000007548: 68560F06
	v_readlane_b32 s82, v3, 8                                  // 00000000754C: D2890052 00011103
	s_lshr_b32 s61, s82, 24                                    // 000000007554: 8F3D9852
	s_and_b32 s82, s82, 0xffffff                               // 000000007558: 8652FF52 00FFFFFF
	s_mul_i32 s82, s82, s71                                    // 000000007560: 92524752
	s_mul_i32 s61, s60, s61                                    // 000000007564: 923D3D3C
	s_add_u32 s82, s82, s61                                    // 000000007568: 80523D52
	v_mul_lo_u32 v6, v5, s82                                   // 00000000756C: D2850006 0000A505
	v_readlane_b32 s82, v3, 9                                  // 000000007574: D2890052 00011303
	s_lshr_b32 s61, s82, 24                                    // 00000000757C: 8F3D9852
	s_and_b32 s82, s82, 0xffffff                               // 000000007580: 8652FF52 00FFFFFF
	s_mul_i32 s82, s82, s71                                    // 000000007588: 92524752
	s_mul_i32 s61, s60, s61                                    // 00000000758C: 923D3D3C
	s_add_u32 s82, s82, s61                                    // 000000007590: 80523D52
	v_mul_lo_u32 v7, v4, s82                                   // 000000007594: D2850007 0000A504
	v_add_u32_e32 v44, v6, v7                                  // 00000000759C: 68580F06
	v_readlane_b32 s82, v3, 10                                 // 0000000075A0: D2890052 00011503
	s_lshr_b32 s61, s82, 24                                    // 0000000075A8: 8F3D9852
	s_and_b32 s82, s82, 0xffffff                               // 0000000075AC: 8652FF52 00FFFFFF
	s_mul_i32 s82, s82, s71                                    // 0000000075B4: 92524752
	s_mul_i32 s61, s60, s61                                    // 0000000075B8: 923D3D3C
	s_add_u32 s82, s82, s61                                    // 0000000075BC: 80523D52
	v_mul_lo_u32 v6, v5, s82                                   // 0000000075C0: D2850006 0000A505
	v_readlane_b32 s82, v3, 11                                 // 0000000075C8: D2890052 00011703
	s_lshr_b32 s61, s82, 24                                    // 0000000075D0: 8F3D9852
	s_and_b32 s82, s82, 0xffffff                               // 0000000075D4: 8652FF52 00FFFFFF
	s_mul_i32 s82, s82, s71                                    // 0000000075DC: 92524752
	s_mul_i32 s61, s60, s61                                    // 0000000075E0: 923D3D3C
	s_add_u32 s82, s82, s61                                    // 0000000075E4: 80523D52
	v_mul_lo_u32 v7, v4, s82                                   // 0000000075E8: D2850007 0000A504
	v_add_u32_e32 v45, v6, v7                                  // 0000000075F0: 685A0F06
	v_and_b32_e32 v4, 31, v0                                   // 0000000075F4: 2608009F
	v_lshrrev_b32_e32 v4, 1, v4                                // 0000000075F8: 20080881
	s_cmp_eq_u32 s88, 0                                        // 0000000075FC: BF068058
	s_cselect_b32 s61, 2, 4                                    // 000000007600: 853D8482
	v_mul_lo_u32 v4, v4, s61                                   // 000000007604: D2850004 00007B04
	v_and_b32_e64 v5, v0, 1                                    // 00000000760C: D1130005 00010300
	v_add_u32_e32 v4, v4, v5                                   // 000000007614: 68080B04
	v_lshlrev_b32_e32 v4, 2, v4                                // 000000007618: 24080882
	v_add_u32_e32 v40, v40, v4                                 // 00000000761C: 68500928
	v_add_u32_e32 v41, v41, v4                                 // 000000007620: 68520929
	v_add_u32_e32 v42, v42, v4                                 // 000000007624: 6854092A
	v_add_u32_e32 v43, v43, v4                                 // 000000007628: 6856092B
	v_add_u32_e32 v44, v44, v4                                 // 00000000762C: 6858092C
	v_add_u32_e32 v45, v45, v4                                 // 000000007630: 685A092D
	s_waitcnt lgkmcnt(0)                                       // 000000007634: BF8CC07F
	s_barrier                                                  // 000000007638: BF8A0000
	ds_read_b32 v48, v21                                       // 00000000763C: D86C0000 30000015
	ds_read_b32 v49, v21 offset:64                             // 000000007644: D86C0040 31000015
	ds_read_b32 v52, v21 offset:2176                           // 00000000764C: D86C0880 34000015
	ds_read_b32 v53, v21 offset:2240                           // 000000007654: D86C08C0 35000015
	ds_read_b32 v56, v21 offset:4352                           // 00000000765C: D86C1100 38000015
	ds_read_b32 v57, v21 offset:4416                           // 000000007664: D86C1140 39000015
	ds_read_b32 v60, v21 offset:6528                           // 00000000766C: D86C1980 3C000015
	ds_read_b32 v61, v21 offset:6592                           // 000000007674: D86C19C0 3D000015
	ds_read_b32 v64, v21 offset:8704                           // 00000000767C: D86C2200 40000015
	ds_read_b32 v65, v21 offset:8768                           // 000000007684: D86C2240 41000015
	ds_read_b32 v68, v21 offset:10880                          // 00000000768C: D86C2A80 44000015
	ds_read_b32 v69, v21 offset:10944                          // 000000007694: D86C2AC0 45000015
	s_waitcnt lgkmcnt(0)                                       // 00000000769C: BF8CC07F
	s_mov_b32 s36, -1                                          // 0000000076A0: BEA400C1
	s_mov_b32 s37, -1                                          // 0000000076A4: BEA500C1
	v_mov_b32_e32 v7, 0                                        // 0000000076A8: 7E0E0280
	s_mov_b64 exec, s[36:37]                                   // 0000000076AC: BEFE0124
	v_mov_b32_e32 v6, v40                                      // 0000000076B0: 7E0C0328
	s_mov_b64 s[60:61], 0                                      // 0000000076B4: BEBC0180
	v_readlane_b32 s82, v3, 0                                  // 0000000076B8: D2890052 00010103
	s_and_b32 s82, s82, 0xffffff                               // 0000000076C0: 8652FF52 00FFFFFF
	s_cmp_lt_u32 s82, s66                                      // 0000000076C8: BF0A4252
	s_cselect_b32 s20, s36, s60                                // 0000000076CC: 85143C24
	v_readlane_b32 s82, v3, 1                                  // 0000000076D0: D2890052 00010303
	s_and_b32 s82, s82, 0xffffff                               // 0000000076D8: 8652FF52 00FFFFFF
	s_cmp_lt_u32 s82, s66                                      // 0000000076E0: BF0A4252
	s_cselect_b32 s21, s36, s60                                // 0000000076E4: 85153C24
	s_mov_b64 exec, s[20:21]                                   // 0000000076E8: BEFE0114
	global_atomic_add_f32 v6, v48, s[8:9]                      // 0000000076EC: DD348000 00083006
	global_atomic_add_f32 v6, v52, s[8:9] offset:256           // 0000000076F4: DD348100 00083406
	s_mov_b64 exec, s[36:37]                                   // 0000000076FC: BEFE0124
	v_mov_b32_e32 v6, v41                                      // 000000007700: 7E0C0329
	s_mov_b64 s[60:61], 0                                      // 000000007704: BEBC0180
	v_readlane_b32 s82, v3, 2                                  // 000000007708: D2890052 00010503
	s_and_b32 s82, s82, 0xffffff                               // 000000007710: 8652FF52 00FFFFFF
	s_cmp_lt_u32 s82, s66                                      // 000000007718: BF0A4252
	s_cselect_b32 s20, s36, s60                                // 00000000771C: 85143C24
	v_readlane_b32 s82, v3, 3                                  // 000000007720: D2890052 00010703
	s_and_b32 s82, s82, 0xffffff                               // 000000007728: 8652FF52 00FFFFFF
	s_cmp_lt_u32 s82, s66                                      // 000000007730: BF0A4252
	s_cselect_b32 s21, s36, s60                                // 000000007734: 85153C24
	s_mov_b64 exec, s[20:21]                                   // 000000007738: BEFE0114
	global_atomic_add_f32 v6, v49, s[8:9]                      // 00000000773C: DD348000 00083106
	global_atomic_add_f32 v6, v53, s[8:9] offset:256           // 000000007744: DD348100 00083506
	s_mov_b64 exec, s[36:37]                                   // 00000000774C: BEFE0124
	v_mov_b32_e32 v6, v42                                      // 000000007750: 7E0C032A
	s_mov_b64 s[60:61], 0                                      // 000000007754: BEBC0180
	v_readlane_b32 s82, v3, 4                                  // 000000007758: D2890052 00010903
	s_and_b32 s82, s82, 0xffffff                               // 000000007760: 8652FF52 00FFFFFF
	s_cmp_lt_u32 s82, s66                                      // 000000007768: BF0A4252
	s_cselect_b32 s20, s36, s60                                // 00000000776C: 85143C24
	v_readlane_b32 s82, v3, 5                                  // 000000007770: D2890052 00010B03
	s_and_b32 s82, s82, 0xffffff                               // 000000007778: 8652FF52 00FFFFFF
	s_cmp_lt_u32 s82, s66                                      // 000000007780: BF0A4252
	s_cselect_b32 s21, s36, s60                                // 000000007784: 85153C24
	s_mov_b64 exec, s[20:21]                                   // 000000007788: BEFE0114
	global_atomic_add_f32 v6, v56, s[8:9]                      // 00000000778C: DD348000 00083806
	global_atomic_add_f32 v6, v60, s[8:9] offset:256           // 000000007794: DD348100 00083C06
	s_mov_b64 exec, s[36:37]                                   // 00000000779C: BEFE0124
	v_mov_b32_e32 v6, v43                                      // 0000000077A0: 7E0C032B
	s_mov_b64 s[60:61], 0                                      // 0000000077A4: BEBC0180
	v_readlane_b32 s82, v3, 6                                  // 0000000077A8: D2890052 00010D03
	s_and_b32 s82, s82, 0xffffff                               // 0000000077B0: 8652FF52 00FFFFFF
	s_cmp_lt_u32 s82, s66                                      // 0000000077B8: BF0A4252
	s_cselect_b32 s20, s36, s60                                // 0000000077BC: 85143C24
	v_readlane_b32 s82, v3, 7                                  // 0000000077C0: D2890052 00010F03
	s_and_b32 s82, s82, 0xffffff                               // 0000000077C8: 8652FF52 00FFFFFF
	s_cmp_lt_u32 s82, s66                                      // 0000000077D0: BF0A4252
	s_cselect_b32 s21, s36, s60                                // 0000000077D4: 85153C24
	s_mov_b64 exec, s[20:21]                                   // 0000000077D8: BEFE0114
	global_atomic_add_f32 v6, v57, s[8:9]                      // 0000000077DC: DD348000 00083906
	global_atomic_add_f32 v6, v61, s[8:9] offset:256           // 0000000077E4: DD348100 00083D06
	s_mov_b64 exec, s[36:37]                                   // 0000000077EC: BEFE0124
	v_mov_b32_e32 v6, v44                                      // 0000000077F0: 7E0C032C
	s_mov_b64 s[60:61], 0                                      // 0000000077F4: BEBC0180
	v_readlane_b32 s82, v3, 8                                  // 0000000077F8: D2890052 00011103
	s_and_b32 s82, s82, 0xffffff                               // 000000007800: 8652FF52 00FFFFFF
	s_cmp_lt_u32 s82, s66                                      // 000000007808: BF0A4252
	s_cselect_b32 s20, s36, s60                                // 00000000780C: 85143C24
	v_readlane_b32 s82, v3, 9                                  // 000000007810: D2890052 00011303
	s_and_b32 s82, s82, 0xffffff                               // 000000007818: 8652FF52 00FFFFFF
	s_cmp_lt_u32 s82, s66                                      // 000000007820: BF0A4252
	s_cselect_b32 s21, s36, s60                                // 000000007824: 85153C24
	s_mov_b64 exec, s[20:21]                                   // 000000007828: BEFE0114
	global_atomic_add_f32 v6, v64, s[8:9]                      // 00000000782C: DD348000 00084006
	global_atomic_add_f32 v6, v68, s[8:9] offset:256           // 000000007834: DD348100 00084406
	s_mov_b64 exec, s[36:37]                                   // 00000000783C: BEFE0124
	v_mov_b32_e32 v6, v45                                      // 000000007840: 7E0C032D
	s_mov_b64 s[60:61], 0                                      // 000000007844: BEBC0180
	v_readlane_b32 s82, v3, 10                                 // 000000007848: D2890052 00011503
	s_and_b32 s82, s82, 0xffffff                               // 000000007850: 8652FF52 00FFFFFF
	s_cmp_lt_u32 s82, s66                                      // 000000007858: BF0A4252
	s_cselect_b32 s20, s36, s60                                // 00000000785C: 85143C24
	v_readlane_b32 s82, v3, 11                                 // 000000007860: D2890052 00011703
	s_and_b32 s82, s82, 0xffffff                               // 000000007868: 8652FF52 00FFFFFF
	s_cmp_lt_u32 s82, s66                                      // 000000007870: BF0A4252
	s_cselect_b32 s21, s36, s60                                // 000000007874: 85153C24
	s_mov_b64 exec, s[20:21]                                   // 000000007878: BEFE0114
	global_atomic_add_f32 v6, v65, s[8:9]                      // 00000000787C: DD348000 00084106
	global_atomic_add_f32 v6, v69, s[8:9] offset:256           // 000000007884: DD348100 00084506
	s_mov_b64 exec, s[36:37]                                   // 00000000788C: BEFE0124
	ds_write_b64 v20, v[50:51]                                 // 000000007890: D89A0000 00003214
	ds_write_b64 v20, v[54:55] offset:4352                     // 000000007898: D89A1100 00003614
	ds_write_b64 v20, v[58:59] offset:8704                     // 0000000078A0: D89A2200 00003A14
	ds_write_b64 v20, v[62:63] offset:2176                     // 0000000078A8: D89A0880 00003E14
	ds_write_b64 v20, v[66:67] offset:6528                     // 0000000078B0: D89A1980 00004214
	ds_write_b64 v20, v[70:71] offset:10880                    // 0000000078B8: D89A2A80 00004614
	s_waitcnt lgkmcnt(0)                                       // 0000000078C0: BF8CC07F
	s_barrier                                                  // 0000000078C4: BF8A0000
	ds_read_b32 v50, v21                                       // 0000000078C8: D86C0000 32000015
	ds_read_b32 v51, v21 offset:64                             // 0000000078D0: D86C0040 33000015
	ds_read_b32 v54, v21 offset:2176                           // 0000000078D8: D86C0880 36000015
	ds_read_b32 v55, v21 offset:2240                           // 0000000078E0: D86C08C0 37000015
	ds_read_b32 v58, v21 offset:4352                           // 0000000078E8: D86C1100 3A000015
	ds_read_b32 v59, v21 offset:4416                           // 0000000078F0: D86C1140 3B000015
	ds_read_b32 v62, v21 offset:6528                           // 0000000078F8: D86C1980 3E000015
	ds_read_b32 v63, v21 offset:6592                           // 000000007900: D86C19C0 3F000015
	ds_read_b32 v66, v21 offset:8704                           // 000000007908: D86C2200 42000015
	ds_read_b32 v67, v21 offset:8768                           // 000000007910: D86C2240 43000015
	ds_read_b32 v70, v21 offset:10880                          // 000000007918: D86C2A80 46000015
	ds_read_b32 v71, v21 offset:10944                          // 000000007920: D86C2AC0 47000015
	s_waitcnt lgkmcnt(0)                                       // 000000007928: BF8CC07F
	v_mov_b32_e32 v7, 0                                        // 00000000792C: 7E0E0280
	s_mov_b64 exec, s[36:37]                                   // 000000007930: BEFE0124
	v_mov_b32_e32 v6, v40                                      // 000000007934: 7E0C0328
	s_mov_b64 s[60:61], 0                                      // 000000007938: BEBC0180
	v_readlane_b32 s82, v3, 0                                  // 00000000793C: D2890052 00010103
	s_and_b32 s82, s82, 0xffffff                               // 000000007944: 8652FF52 00FFFFFF
	s_cmp_lt_u32 s82, s66                                      // 00000000794C: BF0A4252
	s_cselect_b32 s20, s36, s60                                // 000000007950: 85143C24
	v_readlane_b32 s82, v3, 1                                  // 000000007954: D2890052 00010303
	s_and_b32 s82, s82, 0xffffff                               // 00000000795C: 8652FF52 00FFFFFF
	s_cmp_lt_u32 s82, s66                                      // 000000007964: BF0A4252
	s_cselect_b32 s21, s36, s60                                // 000000007968: 85153C24
	s_mov_b64 exec, s[20:21]                                   // 00000000796C: BEFE0114
	global_atomic_add_f32 v6, v50, s[8:9] offset:8             // 000000007970: DD348008 00083206
	global_atomic_add_f32 v6, v54, s[8:9] offset:264           // 000000007978: DD348108 00083606
	s_mov_b64 exec, s[36:37]                                   // 000000007980: BEFE0124
	v_mov_b32_e32 v6, v41                                      // 000000007984: 7E0C0329
	s_mov_b64 s[60:61], 0                                      // 000000007988: BEBC0180
	v_readlane_b32 s82, v3, 2                                  // 00000000798C: D2890052 00010503
	s_and_b32 s82, s82, 0xffffff                               // 000000007994: 8652FF52 00FFFFFF
	s_cmp_lt_u32 s82, s66                                      // 00000000799C: BF0A4252
	s_cselect_b32 s20, s36, s60                                // 0000000079A0: 85143C24
	v_readlane_b32 s82, v3, 3                                  // 0000000079A4: D2890052 00010703
	s_and_b32 s82, s82, 0xffffff                               // 0000000079AC: 8652FF52 00FFFFFF
	s_cmp_lt_u32 s82, s66                                      // 0000000079B4: BF0A4252
	s_cselect_b32 s21, s36, s60                                // 0000000079B8: 85153C24
	s_mov_b64 exec, s[20:21]                                   // 0000000079BC: BEFE0114
	global_atomic_add_f32 v6, v51, s[8:9] offset:8             // 0000000079C0: DD348008 00083306
	global_atomic_add_f32 v6, v55, s[8:9] offset:264           // 0000000079C8: DD348108 00083706
	s_mov_b64 exec, s[36:37]                                   // 0000000079D0: BEFE0124
	v_mov_b32_e32 v6, v42                                      // 0000000079D4: 7E0C032A
	s_mov_b64 s[60:61], 0                                      // 0000000079D8: BEBC0180
	v_readlane_b32 s82, v3, 4                                  // 0000000079DC: D2890052 00010903
	s_and_b32 s82, s82, 0xffffff                               // 0000000079E4: 8652FF52 00FFFFFF
	s_cmp_lt_u32 s82, s66                                      // 0000000079EC: BF0A4252
	s_cselect_b32 s20, s36, s60                                // 0000000079F0: 85143C24
	v_readlane_b32 s82, v3, 5                                  // 0000000079F4: D2890052 00010B03
	s_and_b32 s82, s82, 0xffffff                               // 0000000079FC: 8652FF52 00FFFFFF
	s_cmp_lt_u32 s82, s66                                      // 000000007A04: BF0A4252
	s_cselect_b32 s21, s36, s60                                // 000000007A08: 85153C24
	s_mov_b64 exec, s[20:21]                                   // 000000007A0C: BEFE0114
	global_atomic_add_f32 v6, v58, s[8:9] offset:8             // 000000007A10: DD348008 00083A06
	global_atomic_add_f32 v6, v62, s[8:9] offset:264           // 000000007A18: DD348108 00083E06
	s_mov_b64 exec, s[36:37]                                   // 000000007A20: BEFE0124
	v_mov_b32_e32 v6, v43                                      // 000000007A24: 7E0C032B
	s_mov_b64 s[60:61], 0                                      // 000000007A28: BEBC0180
	v_readlane_b32 s82, v3, 6                                  // 000000007A2C: D2890052 00010D03
	s_and_b32 s82, s82, 0xffffff                               // 000000007A34: 8652FF52 00FFFFFF
	s_cmp_lt_u32 s82, s66                                      // 000000007A3C: BF0A4252
	s_cselect_b32 s20, s36, s60                                // 000000007A40: 85143C24
	v_readlane_b32 s82, v3, 7                                  // 000000007A44: D2890052 00010F03
	s_and_b32 s82, s82, 0xffffff                               // 000000007A4C: 8652FF52 00FFFFFF
	s_cmp_lt_u32 s82, s66                                      // 000000007A54: BF0A4252
	s_cselect_b32 s21, s36, s60                                // 000000007A58: 85153C24
	s_mov_b64 exec, s[20:21]                                   // 000000007A5C: BEFE0114
	global_atomic_add_f32 v6, v59, s[8:9] offset:8             // 000000007A60: DD348008 00083B06
	global_atomic_add_f32 v6, v63, s[8:9] offset:264           // 000000007A68: DD348108 00083F06
	s_mov_b64 exec, s[36:37]                                   // 000000007A70: BEFE0124
	v_mov_b32_e32 v6, v44                                      // 000000007A74: 7E0C032C
	s_mov_b64 s[60:61], 0                                      // 000000007A78: BEBC0180
	v_readlane_b32 s82, v3, 8                                  // 000000007A7C: D2890052 00011103
	s_and_b32 s82, s82, 0xffffff                               // 000000007A84: 8652FF52 00FFFFFF
	s_cmp_lt_u32 s82, s66                                      // 000000007A8C: BF0A4252
	s_cselect_b32 s20, s36, s60                                // 000000007A90: 85143C24
	v_readlane_b32 s82, v3, 9                                  // 000000007A94: D2890052 00011303
	s_and_b32 s82, s82, 0xffffff                               // 000000007A9C: 8652FF52 00FFFFFF
	s_cmp_lt_u32 s82, s66                                      // 000000007AA4: BF0A4252
	s_cselect_b32 s21, s36, s60                                // 000000007AA8: 85153C24
	s_mov_b64 exec, s[20:21]                                   // 000000007AAC: BEFE0114
	global_atomic_add_f32 v6, v66, s[8:9] offset:8             // 000000007AB0: DD348008 00084206
	global_atomic_add_f32 v6, v70, s[8:9] offset:264           // 000000007AB8: DD348108 00084606
	s_mov_b64 exec, s[36:37]                                   // 000000007AC0: BEFE0124
	v_mov_b32_e32 v6, v45                                      // 000000007AC4: 7E0C032D
	s_mov_b64 s[60:61], 0                                      // 000000007AC8: BEBC0180
	v_readlane_b32 s82, v3, 10                                 // 000000007ACC: D2890052 00011503
	s_and_b32 s82, s82, 0xffffff                               // 000000007AD4: 8652FF52 00FFFFFF
	s_cmp_lt_u32 s82, s66                                      // 000000007ADC: BF0A4252
	s_cselect_b32 s20, s36, s60                                // 000000007AE0: 85143C24
	v_readlane_b32 s82, v3, 11                                 // 000000007AE4: D2890052 00011703
	s_and_b32 s82, s82, 0xffffff                               // 000000007AEC: 8652FF52 00FFFFFF
	s_cmp_lt_u32 s82, s66                                      // 000000007AF4: BF0A4252
	s_cselect_b32 s21, s36, s60                                // 000000007AF8: 85153C24
	s_mov_b64 exec, s[20:21]                                   // 000000007AFC: BEFE0114
	global_atomic_add_f32 v6, v67, s[8:9] offset:8             // 000000007B00: DD348008 00084306
	global_atomic_add_f32 v6, v71, s[8:9] offset:264           // 000000007B08: DD348108 00084706
	s_mov_b64 exec, s[36:37]                                   // 000000007B10: BEFE0124
	ds_write_b64 v20, v[72:73]                                 // 000000007B14: D89A0000 00004814
	ds_write_b64 v20, v[76:77] offset:4352                     // 000000007B1C: D89A1100 00004C14
	ds_write_b64 v20, v[80:81] offset:8704                     // 000000007B24: D89A2200 00005014
	ds_write_b64 v20, v[84:85] offset:2176                     // 000000007B2C: D89A0880 00005414
	ds_write_b64 v20, v[88:89] offset:6528                     // 000000007B34: D89A1980 00005814
	ds_write_b64 v20, v[92:93] offset:10880                    // 000000007B3C: D89A2A80 00005C14
	s_waitcnt lgkmcnt(0)                                       // 000000007B44: BF8CC07F
	s_barrier                                                  // 000000007B48: BF8A0000
	ds_read_b32 v72, v21                                       // 000000007B4C: D86C0000 48000015
	ds_read_b32 v73, v21 offset:64                             // 000000007B54: D86C0040 49000015
	ds_read_b32 v76, v21 offset:2176                           // 000000007B5C: D86C0880 4C000015
	ds_read_b32 v77, v21 offset:2240                           // 000000007B64: D86C08C0 4D000015
	ds_read_b32 v80, v21 offset:4352                           // 000000007B6C: D86C1100 50000015
	ds_read_b32 v81, v21 offset:4416                           // 000000007B74: D86C1140 51000015
	ds_read_b32 v84, v21 offset:6528                           // 000000007B7C: D86C1980 54000015
	ds_read_b32 v85, v21 offset:6592                           // 000000007B84: D86C19C0 55000015
	ds_read_b32 v88, v21 offset:8704                           // 000000007B8C: D86C2200 58000015
	ds_read_b32 v89, v21 offset:8768                           // 000000007B94: D86C2240 59000015
	ds_read_b32 v92, v21 offset:10880                          // 000000007B9C: D86C2A80 5C000015
	ds_read_b32 v93, v21 offset:10944                          // 000000007BA4: D86C2AC0 5D000015
	s_mul_i32 s60, s65, 4                                      // 000000007BAC: 923C8441
	s_add_u32 s8, s60, s8                                      // 000000007BB0: 8008083C
	s_addc_u32 s9, 0, s9                                       // 000000007BB4: 82090980
	s_waitcnt lgkmcnt(0)                                       // 000000007BB8: BF8CC07F
	v_mov_b32_e32 v7, 0                                        // 000000007BBC: 7E0E0280
	s_mov_b64 exec, s[36:37]                                   // 000000007BC0: BEFE0124
	v_mov_b32_e32 v6, v40                                      // 000000007BC4: 7E0C0328
	s_mov_b64 s[60:61], 0                                      // 000000007BC8: BEBC0180
	v_readlane_b32 s82, v3, 0                                  // 000000007BCC: D2890052 00010103
	s_and_b32 s82, s82, 0xffffff                               // 000000007BD4: 8652FF52 00FFFFFF
	s_cmp_lt_u32 s82, s66                                      // 000000007BDC: BF0A4252
	s_cselect_b32 s20, s36, s60                                // 000000007BE0: 85143C24
	v_readlane_b32 s82, v3, 1                                  // 000000007BE4: D2890052 00010303
	s_and_b32 s82, s82, 0xffffff                               // 000000007BEC: 8652FF52 00FFFFFF
	s_cmp_lt_u32 s82, s66                                      // 000000007BF4: BF0A4252
	s_cselect_b32 s21, s36, s60                                // 000000007BF8: 85153C24
	s_mov_b64 exec, s[20:21]                                   // 000000007BFC: BEFE0114
	global_atomic_add_f32 v6, v72, s[8:9]                      // 000000007C00: DD348000 00084806
	global_atomic_add_f32 v6, v76, s[8:9] offset:256           // 000000007C08: DD348100 00084C06
	s_mov_b64 exec, s[36:37]                                   // 000000007C10: BEFE0124
	v_mov_b32_e32 v6, v41                                      // 000000007C14: 7E0C0329
	s_mov_b64 s[60:61], 0                                      // 000000007C18: BEBC0180
	v_readlane_b32 s82, v3, 2                                  // 000000007C1C: D2890052 00010503
	s_and_b32 s82, s82, 0xffffff                               // 000000007C24: 8652FF52 00FFFFFF
	s_cmp_lt_u32 s82, s66                                      // 000000007C2C: BF0A4252
	s_cselect_b32 s20, s36, s60                                // 000000007C30: 85143C24
	v_readlane_b32 s82, v3, 3                                  // 000000007C34: D2890052 00010703
	s_and_b32 s82, s82, 0xffffff                               // 000000007C3C: 8652FF52 00FFFFFF
	s_cmp_lt_u32 s82, s66                                      // 000000007C44: BF0A4252
	s_cselect_b32 s21, s36, s60                                // 000000007C48: 85153C24
	s_mov_b64 exec, s[20:21]                                   // 000000007C4C: BEFE0114
	global_atomic_add_f32 v6, v73, s[8:9]                      // 000000007C50: DD348000 00084906
	global_atomic_add_f32 v6, v77, s[8:9] offset:256           // 000000007C58: DD348100 00084D06
	s_mov_b64 exec, s[36:37]                                   // 000000007C60: BEFE0124
	v_mov_b32_e32 v6, v42                                      // 000000007C64: 7E0C032A
	s_mov_b64 s[60:61], 0                                      // 000000007C68: BEBC0180
	v_readlane_b32 s82, v3, 4                                  // 000000007C6C: D2890052 00010903
	s_and_b32 s82, s82, 0xffffff                               // 000000007C74: 8652FF52 00FFFFFF
	s_cmp_lt_u32 s82, s66                                      // 000000007C7C: BF0A4252
	s_cselect_b32 s20, s36, s60                                // 000000007C80: 85143C24
	v_readlane_b32 s82, v3, 5                                  // 000000007C84: D2890052 00010B03
	s_and_b32 s82, s82, 0xffffff                               // 000000007C8C: 8652FF52 00FFFFFF
	s_cmp_lt_u32 s82, s66                                      // 000000007C94: BF0A4252
	s_cselect_b32 s21, s36, s60                                // 000000007C98: 85153C24
	s_mov_b64 exec, s[20:21]                                   // 000000007C9C: BEFE0114
	global_atomic_add_f32 v6, v80, s[8:9]                      // 000000007CA0: DD348000 00085006
	global_atomic_add_f32 v6, v84, s[8:9] offset:256           // 000000007CA8: DD348100 00085406
	s_mov_b64 exec, s[36:37]                                   // 000000007CB0: BEFE0124
	v_mov_b32_e32 v6, v43                                      // 000000007CB4: 7E0C032B
	s_mov_b64 s[60:61], 0                                      // 000000007CB8: BEBC0180
	v_readlane_b32 s82, v3, 6                                  // 000000007CBC: D2890052 00010D03
	s_and_b32 s82, s82, 0xffffff                               // 000000007CC4: 8652FF52 00FFFFFF
	s_cmp_lt_u32 s82, s66                                      // 000000007CCC: BF0A4252
	s_cselect_b32 s20, s36, s60                                // 000000007CD0: 85143C24
	v_readlane_b32 s82, v3, 7                                  // 000000007CD4: D2890052 00010F03
	s_and_b32 s82, s82, 0xffffff                               // 000000007CDC: 8652FF52 00FFFFFF
	s_cmp_lt_u32 s82, s66                                      // 000000007CE4: BF0A4252
	s_cselect_b32 s21, s36, s60                                // 000000007CE8: 85153C24
	s_mov_b64 exec, s[20:21]                                   // 000000007CEC: BEFE0114
	global_atomic_add_f32 v6, v81, s[8:9]                      // 000000007CF0: DD348000 00085106
	global_atomic_add_f32 v6, v85, s[8:9] offset:256           // 000000007CF8: DD348100 00085506
	s_mov_b64 exec, s[36:37]                                   // 000000007D00: BEFE0124
	v_mov_b32_e32 v6, v44                                      // 000000007D04: 7E0C032C
	s_mov_b64 s[60:61], 0                                      // 000000007D08: BEBC0180
	v_readlane_b32 s82, v3, 8                                  // 000000007D0C: D2890052 00011103
	s_and_b32 s82, s82, 0xffffff                               // 000000007D14: 8652FF52 00FFFFFF
	s_cmp_lt_u32 s82, s66                                      // 000000007D1C: BF0A4252
	s_cselect_b32 s20, s36, s60                                // 000000007D20: 85143C24
	v_readlane_b32 s82, v3, 9                                  // 000000007D24: D2890052 00011303
	s_and_b32 s82, s82, 0xffffff                               // 000000007D2C: 8652FF52 00FFFFFF
	s_cmp_lt_u32 s82, s66                                      // 000000007D34: BF0A4252
	s_cselect_b32 s21, s36, s60                                // 000000007D38: 85153C24
	s_mov_b64 exec, s[20:21]                                   // 000000007D3C: BEFE0114
	global_atomic_add_f32 v6, v88, s[8:9]                      // 000000007D40: DD348000 00085806
	global_atomic_add_f32 v6, v92, s[8:9] offset:256           // 000000007D48: DD348100 00085C06
	s_mov_b64 exec, s[36:37]                                   // 000000007D50: BEFE0124
	v_mov_b32_e32 v6, v45                                      // 000000007D54: 7E0C032D
	s_mov_b64 s[60:61], 0                                      // 000000007D58: BEBC0180
	v_readlane_b32 s82, v3, 10                                 // 000000007D5C: D2890052 00011503
	s_and_b32 s82, s82, 0xffffff                               // 000000007D64: 8652FF52 00FFFFFF
	s_cmp_lt_u32 s82, s66                                      // 000000007D6C: BF0A4252
	s_cselect_b32 s20, s36, s60                                // 000000007D70: 85143C24
	v_readlane_b32 s82, v3, 11                                 // 000000007D74: D2890052 00011703
	s_and_b32 s82, s82, 0xffffff                               // 000000007D7C: 8652FF52 00FFFFFF
	s_cmp_lt_u32 s82, s66                                      // 000000007D84: BF0A4252
	s_cselect_b32 s21, s36, s60                                // 000000007D88: 85153C24
	s_mov_b64 exec, s[20:21]                                   // 000000007D8C: BEFE0114
	global_atomic_add_f32 v6, v89, s[8:9]                      // 000000007D90: DD348000 00085906
	global_atomic_add_f32 v6, v93, s[8:9] offset:256           // 000000007D98: DD348100 00085D06
	s_mov_b64 exec, s[36:37]                                   // 000000007DA0: BEFE0124
	ds_write_b64 v20, v[74:75]                                 // 000000007DA4: D89A0000 00004A14
	ds_write_b64 v20, v[78:79] offset:4352                     // 000000007DAC: D89A1100 00004E14
	ds_write_b64 v20, v[82:83] offset:8704                     // 000000007DB4: D89A2200 00005214
	ds_write_b64 v20, v[86:87] offset:2176                     // 000000007DBC: D89A0880 00005614
	ds_write_b64 v20, v[90:91] offset:6528                     // 000000007DC4: D89A1980 00005A14
	ds_write_b64 v20, v[94:95] offset:10880                    // 000000007DCC: D89A2A80 00005E14
	s_waitcnt lgkmcnt(0)                                       // 000000007DD4: BF8CC07F
	s_barrier                                                  // 000000007DD8: BF8A0000
	ds_read_b32 v74, v21                                       // 000000007DDC: D86C0000 4A000015
	ds_read_b32 v75, v21 offset:64                             // 000000007DE4: D86C0040 4B000015
	ds_read_b32 v78, v21 offset:2176                           // 000000007DEC: D86C0880 4E000015
	ds_read_b32 v79, v21 offset:2240                           // 000000007DF4: D86C08C0 4F000015
	ds_read_b32 v82, v21 offset:4352                           // 000000007DFC: D86C1100 52000015
	ds_read_b32 v83, v21 offset:4416                           // 000000007E04: D86C1140 53000015
	ds_read_b32 v86, v21 offset:6528                           // 000000007E0C: D86C1980 56000015
	ds_read_b32 v87, v21 offset:6592                           // 000000007E14: D86C19C0 57000015
	ds_read_b32 v90, v21 offset:8704                           // 000000007E1C: D86C2200 5A000015
	ds_read_b32 v91, v21 offset:8768                           // 000000007E24: D86C2240 5B000015
	ds_read_b32 v94, v21 offset:10880                          // 000000007E2C: D86C2A80 5E000015
	ds_read_b32 v95, v21 offset:10944                          // 000000007E34: D86C2AC0 5F000015
	s_waitcnt lgkmcnt(0)                                       // 000000007E3C: BF8CC07F
	v_mov_b32_e32 v7, 0                                        // 000000007E40: 7E0E0280
	s_mov_b64 exec, s[36:37]                                   // 000000007E44: BEFE0124
	v_mov_b32_e32 v6, v40                                      // 000000007E48: 7E0C0328
	s_mov_b64 s[60:61], 0                                      // 000000007E4C: BEBC0180
	v_readlane_b32 s82, v3, 0                                  // 000000007E50: D2890052 00010103
	s_and_b32 s82, s82, 0xffffff                               // 000000007E58: 8652FF52 00FFFFFF
	s_cmp_lt_u32 s82, s66                                      // 000000007E60: BF0A4252
	s_cselect_b32 s20, s36, s60                                // 000000007E64: 85143C24
	v_readlane_b32 s82, v3, 1                                  // 000000007E68: D2890052 00010303
	s_and_b32 s82, s82, 0xffffff                               // 000000007E70: 8652FF52 00FFFFFF
	s_cmp_lt_u32 s82, s66                                      // 000000007E78: BF0A4252
	s_cselect_b32 s21, s36, s60                                // 000000007E7C: 85153C24
	s_mov_b64 exec, s[20:21]                                   // 000000007E80: BEFE0114
	global_atomic_add_f32 v6, v74, s[8:9] offset:8             // 000000007E84: DD348008 00084A06
	global_atomic_add_f32 v6, v78, s[8:9] offset:264           // 000000007E8C: DD348108 00084E06
	s_mov_b64 exec, s[36:37]                                   // 000000007E94: BEFE0124
	v_mov_b32_e32 v6, v41                                      // 000000007E98: 7E0C0329
	s_mov_b64 s[60:61], 0                                      // 000000007E9C: BEBC0180
	v_readlane_b32 s82, v3, 2                                  // 000000007EA0: D2890052 00010503
	s_and_b32 s82, s82, 0xffffff                               // 000000007EA8: 8652FF52 00FFFFFF
	s_cmp_lt_u32 s82, s66                                      // 000000007EB0: BF0A4252
	s_cselect_b32 s20, s36, s60                                // 000000007EB4: 85143C24
	v_readlane_b32 s82, v3, 3                                  // 000000007EB8: D2890052 00010703
	s_and_b32 s82, s82, 0xffffff                               // 000000007EC0: 8652FF52 00FFFFFF
	s_cmp_lt_u32 s82, s66                                      // 000000007EC8: BF0A4252
	s_cselect_b32 s21, s36, s60                                // 000000007ECC: 85153C24
	s_mov_b64 exec, s[20:21]                                   // 000000007ED0: BEFE0114
	global_atomic_add_f32 v6, v75, s[8:9] offset:8             // 000000007ED4: DD348008 00084B06
	global_atomic_add_f32 v6, v79, s[8:9] offset:264           // 000000007EDC: DD348108 00084F06
	s_mov_b64 exec, s[36:37]                                   // 000000007EE4: BEFE0124
	v_mov_b32_e32 v6, v42                                      // 000000007EE8: 7E0C032A
	s_mov_b64 s[60:61], 0                                      // 000000007EEC: BEBC0180
	v_readlane_b32 s82, v3, 4                                  // 000000007EF0: D2890052 00010903
	s_and_b32 s82, s82, 0xffffff                               // 000000007EF8: 8652FF52 00FFFFFF
	s_cmp_lt_u32 s82, s66                                      // 000000007F00: BF0A4252
	s_cselect_b32 s20, s36, s60                                // 000000007F04: 85143C24
	v_readlane_b32 s82, v3, 5                                  // 000000007F08: D2890052 00010B03
	s_and_b32 s82, s82, 0xffffff                               // 000000007F10: 8652FF52 00FFFFFF
	s_cmp_lt_u32 s82, s66                                      // 000000007F18: BF0A4252
	s_cselect_b32 s21, s36, s60                                // 000000007F1C: 85153C24
	s_mov_b64 exec, s[20:21]                                   // 000000007F20: BEFE0114
	global_atomic_add_f32 v6, v82, s[8:9] offset:8             // 000000007F24: DD348008 00085206
	global_atomic_add_f32 v6, v86, s[8:9] offset:264           // 000000007F2C: DD348108 00085606
	s_mov_b64 exec, s[36:37]                                   // 000000007F34: BEFE0124
	v_mov_b32_e32 v6, v43                                      // 000000007F38: 7E0C032B
	s_mov_b64 s[60:61], 0                                      // 000000007F3C: BEBC0180
	v_readlane_b32 s82, v3, 6                                  // 000000007F40: D2890052 00010D03
	s_and_b32 s82, s82, 0xffffff                               // 000000007F48: 8652FF52 00FFFFFF
	s_cmp_lt_u32 s82, s66                                      // 000000007F50: BF0A4252
	s_cselect_b32 s20, s36, s60                                // 000000007F54: 85143C24
	v_readlane_b32 s82, v3, 7                                  // 000000007F58: D2890052 00010F03
	s_and_b32 s82, s82, 0xffffff                               // 000000007F60: 8652FF52 00FFFFFF
	s_cmp_lt_u32 s82, s66                                      // 000000007F68: BF0A4252
	s_cselect_b32 s21, s36, s60                                // 000000007F6C: 85153C24
	s_mov_b64 exec, s[20:21]                                   // 000000007F70: BEFE0114
	global_atomic_add_f32 v6, v83, s[8:9] offset:8             // 000000007F74: DD348008 00085306
	global_atomic_add_f32 v6, v87, s[8:9] offset:264           // 000000007F7C: DD348108 00085706
	s_mov_b64 exec, s[36:37]                                   // 000000007F84: BEFE0124
	v_mov_b32_e32 v6, v44                                      // 000000007F88: 7E0C032C
	s_mov_b64 s[60:61], 0                                      // 000000007F8C: BEBC0180
	v_readlane_b32 s82, v3, 8                                  // 000000007F90: D2890052 00011103
	s_and_b32 s82, s82, 0xffffff                               // 000000007F98: 8652FF52 00FFFFFF
	s_cmp_lt_u32 s82, s66                                      // 000000007FA0: BF0A4252
	s_cselect_b32 s20, s36, s60                                // 000000007FA4: 85143C24
	v_readlane_b32 s82, v3, 9                                  // 000000007FA8: D2890052 00011303
	s_and_b32 s82, s82, 0xffffff                               // 000000007FB0: 8652FF52 00FFFFFF
	s_cmp_lt_u32 s82, s66                                      // 000000007FB8: BF0A4252
	s_cselect_b32 s21, s36, s60                                // 000000007FBC: 85153C24
	s_mov_b64 exec, s[20:21]                                   // 000000007FC0: BEFE0114
	global_atomic_add_f32 v6, v90, s[8:9] offset:8             // 000000007FC4: DD348008 00085A06
	global_atomic_add_f32 v6, v94, s[8:9] offset:264           // 000000007FCC: DD348108 00085E06
	s_mov_b64 exec, s[36:37]                                   // 000000007FD4: BEFE0124
	v_mov_b32_e32 v6, v45                                      // 000000007FD8: 7E0C032D
	s_mov_b64 s[60:61], 0                                      // 000000007FDC: BEBC0180
	v_readlane_b32 s82, v3, 10                                 // 000000007FE0: D2890052 00011503
	s_and_b32 s82, s82, 0xffffff                               // 000000007FE8: 8652FF52 00FFFFFF
	s_cmp_lt_u32 s82, s66                                      // 000000007FF0: BF0A4252
	s_cselect_b32 s20, s36, s60                                // 000000007FF4: 85143C24
	v_readlane_b32 s82, v3, 11                                 // 000000007FF8: D2890052 00011703
	s_and_b32 s82, s82, 0xffffff                               // 000000008000: 8652FF52 00FFFFFF
	s_cmp_lt_u32 s82, s66                                      // 000000008008: BF0A4252
	s_cselect_b32 s21, s36, s60                                // 00000000800C: 85153C24
	s_mov_b64 exec, s[20:21]                                   // 000000008010: BEFE0114
	global_atomic_add_f32 v6, v91, s[8:9] offset:8             // 000000008014: DD348008 00085B06
	global_atomic_add_f32 v6, v95, s[8:9] offset:264           // 00000000801C: DD348108 00085F06
	s_mov_b64 exec, s[36:37]                                   // 000000008024: BEFE0124
	s_branch label_158E                                        // 000000008028: BF820000

000000000000802c <label_158E>:
	s_waitcnt vmcnt(0) expcnt(0) lgkmcnt(0)                    // 00000000802C: BF8C0000
	s_endpgm                                                   // 000000008030: BF810000
